;; amdgpu-corpus repo=ROCm/rocFFT kind=compiled arch=gfx1201 opt=O3
	.text
	.amdgcn_target "amdgcn-amd-amdhsa--gfx1201"
	.amdhsa_code_object_version 6
	.protected	bluestein_single_back_len4050_dim1_sp_op_CI_CI ; -- Begin function bluestein_single_back_len4050_dim1_sp_op_CI_CI
	.globl	bluestein_single_back_len4050_dim1_sp_op_CI_CI
	.p2align	8
	.type	bluestein_single_back_len4050_dim1_sp_op_CI_CI,@function
bluestein_single_back_len4050_dim1_sp_op_CI_CI: ; @bluestein_single_back_len4050_dim1_sp_op_CI_CI
; %bb.0:
	s_load_b128 s[16:19], s[0:1], 0x28
	v_mul_u32_u24_e32 v1, 0x1e6, v0
	s_mov_b32 s2, exec_lo
	v_mov_b32_e32 v3, 0
	s_delay_alu instid0(VALU_DEP_2) | instskip(NEXT) | instid1(VALU_DEP_1)
	v_lshrrev_b32_e32 v1, 16, v1
	v_add_nc_u32_e32 v2, ttmp9, v1
	s_wait_kmcnt 0x0
	s_delay_alu instid0(VALU_DEP_1)
	v_cmpx_gt_u64_e64 s[16:17], v[2:3]
	s_cbranch_execz .LBB0_2
; %bb.1:
	s_clause 0x1
	s_load_b128 s[4:7], s[0:1], 0x18
	s_load_b128 s[8:11], s[0:1], 0x0
	v_mul_lo_u16 v1, 0x87, v1
	s_load_b64 s[0:1], s[0:1], 0x38
	s_delay_alu instid0(VALU_DEP_1) | instskip(NEXT) | instid1(VALU_DEP_1)
	v_sub_nc_u16 v104, v0, v1
	v_and_b32_e32 v128, 0xffff, v104
	v_mov_b32_e32 v4, v2
	scratch_store_b64 off, v[4:5], off      ; 8-byte Folded Spill
	s_wait_kmcnt 0x0
	s_load_b128 s[12:15], s[4:5], 0x0
	s_wait_kmcnt 0x0
	v_mad_co_u64_u32 v[0:1], null, s14, v2, 0
	v_mad_co_u64_u32 v[2:3], null, s12, v128, 0
	s_mul_u64 s[2:3], s[12:13], 0xca8
	s_mul_i32 s4, s13, 0xffff9250
	s_delay_alu instid0(SALU_CYCLE_1) | instskip(NEXT) | instid1(VALU_DEP_1)
	s_sub_co_i32 s4, s4, s12
	v_mad_co_u64_u32 v[4:5], null, s15, v4, v[1:2]
	s_delay_alu instid0(VALU_DEP_1) | instskip(SKIP_1) | instid1(VALU_DEP_4)
	v_mov_b32_e32 v1, v4
	v_lshlrev_b32_e32 v93, 3, v128
	v_mad_co_u64_u32 v[5:6], null, s13, v128, v[3:4]
	s_clause 0x1
	global_load_b64 v[46:47], v93, s[8:9]
	global_load_b64 v[30:31], v93, s[8:9] offset:3240
	v_lshlrev_b64_e32 v[0:1], 3, v[0:1]
	global_load_b64 v[34:35], v93, s[8:9] offset:6480
	v_dual_mov_b32 v3, v5 :: v_dual_add_nc_u32 v210, 0x4a00, v93
	v_add_nc_u32_e32 v243, 0x5c00, v93
	v_add_nc_u32_e32 v209, 0x6400, v93
	v_add_co_u32 v0, vcc_lo, s18, v0
	s_delay_alu instid0(VALU_DEP_4) | instskip(SKIP_1) | instid1(VALU_DEP_2)
	v_lshlrev_b64_e32 v[2:3], 3, v[2:3]
	v_add_co_ci_u32_e32 v1, vcc_lo, s19, v1, vcc_lo
	v_add_co_u32 v0, vcc_lo, v0, v2
	s_wait_alu 0xfffd
	s_delay_alu instid0(VALU_DEP_2) | instskip(NEXT) | instid1(VALU_DEP_2)
	v_add_co_ci_u32_e32 v1, vcc_lo, v1, v3, vcc_lo
	v_add_co_u32 v4, vcc_lo, v0, s2
	s_wait_alu 0xfffd
	s_delay_alu instid0(VALU_DEP_2)
	v_add_co_ci_u32_e32 v5, vcc_lo, s3, v1, vcc_lo
	global_load_b64 v[2:3], v[0:1], off
	v_add_co_u32 v6, vcc_lo, v4, s2
	s_wait_alu 0xfffd
	v_add_co_ci_u32_e32 v7, vcc_lo, s3, v5, vcc_lo
	global_load_b64 v[0:1], v[4:5], off
	v_add_co_u32 v8, vcc_lo, v6, s2
	s_wait_alu 0xfffd
	;; [unrolled: 4-line block ×3, first 2 shown]
	v_add_co_ci_u32_e32 v11, vcc_lo, s3, v9, vcc_lo
	s_clause 0x1
	global_load_b64 v[28:29], v93, s[8:9] offset:9720
	global_load_b64 v[36:37], v93, s[8:9] offset:12960
	global_load_b64 v[6:7], v[8:9], off
	global_load_b64 v[26:27], v93, s[8:9] offset:16200
	global_load_b64 v[8:9], v[10:11], off
	v_add_co_u32 v10, vcc_lo, v10, s2
	s_wait_alu 0xfffd
	v_add_co_ci_u32_e32 v11, vcc_lo, s3, v11, vcc_lo
	global_load_b64 v[50:51], v93, s[8:9] offset:19440
	v_add_co_u32 v13, vcc_lo, v10, s2
	s_wait_alu 0xfffd
	v_add_co_ci_u32_e32 v14, vcc_lo, s3, v11, vcc_lo
	global_load_b64 v[10:11], v[10:11], off
	v_add_co_u32 v15, vcc_lo, v13, s2
	s_wait_alu 0xfffd
	v_add_co_ci_u32_e32 v16, vcc_lo, s3, v14, vcc_lo
	global_load_b64 v[13:14], v[13:14], off
	global_load_b64 v[32:33], v93, s[8:9] offset:22680
	global_load_b64 v[17:18], v[15:16], off
	v_add_co_u32 v15, vcc_lo, v15, s2
	s_wait_alu 0xfffd
	v_add_co_ci_u32_e32 v16, vcc_lo, s3, v16, vcc_lo
	global_load_b64 v[52:53], v93, s[8:9] offset:25920
	global_load_b64 v[19:20], v[15:16], off
	s_clause 0x9
	global_load_b64 v[56:57], v93, s[8:9] offset:1080
	global_load_b64 v[60:61], v93, s[8:9] offset:7560
	;; [unrolled: 1-line block ×10, first 2 shown]
	v_add_co_u32 v15, vcc_lo, v15, s2
	s_wait_alu 0xfffd
	v_add_co_ci_u32_e32 v16, vcc_lo, s3, v16, vcc_lo
	s_wait_loadcnt 0x1b
	scratch_store_b64 off, v[46:47], off offset:240 ; 8-byte Folded Spill
	s_wait_loadcnt 0x1a
	scratch_store_b64 off, v[30:31], off offset:152 ; 8-byte Folded Spill
	;; [unrolled: 2-line block ×3, first 2 shown]
	s_wait_loadcnt 0x18
	v_mul_f32_e32 v22, v2, v47
	v_mul_f32_e32 v21, v3, v47
	s_delay_alu instid0(VALU_DEP_2)
	v_fma_f32 v22, v3, v46, -v22
	s_wait_loadcnt 0x17
	v_mul_f32_e32 v3, v0, v31
	v_mul_f32_e32 v23, v1, v31
	s_wait_loadcnt 0x16
	v_dual_fmac_f32 v21, v2, v46 :: v_dual_mul_f32 v2, v5, v35
	v_mul_f32_e32 v25, v4, v35
	s_wait_loadcnt 0x13
	v_dual_fmac_f32 v23, v0, v30 :: v_dual_mul_f32 v0, v7, v29
	v_fma_f32 v24, v1, v30, -v3
	v_fmac_f32_e32 v2, v4, v34
	s_wait_loadcnt 0x11
	v_mul_f32_e32 v4, v9, v37
	v_fma_f32 v3, v5, v34, -v25
	v_mul_f32_e32 v1, v6, v29
	scratch_store_b64 off, v[28:29], off offset:56 ; 8-byte Folded Spill
	ds_store_b64 v93, v[23:24] offset:3240
	v_fmac_f32_e32 v4, v8, v36
	scratch_store_b64 off, v[36:37], off offset:192 ; 8-byte Folded Spill
	v_fma_f32 v1, v7, v28, -v1
	global_load_b64 v[34:35], v93, s[8:9] offset:18360
	v_fmac_f32_e32 v0, v6, v28
	s_clause 0x1
	global_load_b64 v[30:31], v93, s[8:9] offset:23760
	global_load_b64 v[28:29], v93, s[8:9] offset:24840
	ds_store_b64 v93, v[2:3] offset:6480
	s_wait_loadcnt 0x12
	v_dual_mul_f32 v2, v11, v27 :: v_dual_mul_f32 v5, v8, v37
	scratch_store_b64 off, v[26:27], off offset:24 ; 8-byte Folded Spill
	v_add_nc_u32_e32 v12, 0x1000, v93
	s_wait_loadcnt 0xd
	v_mul_f32_e32 v6, v19, v53
	v_fmac_f32_e32 v2, v10, v26
	v_fma_f32 v5, v9, v36, -v5
	ds_store_b64 v93, v[0:1] offset:9720
	ds_store_b64 v93, v[4:5] offset:12960
	v_dual_mov_b32 v133, v12 :: v_dual_mul_f32 v0, v14, v51
	v_mul_f32_e32 v5, v17, v33
	v_mul_f32_e32 v3, v10, v27
	v_dual_mul_f32 v1, v13, v51 :: v_dual_mul_f32 v4, v18, v33
	s_delay_alu instid0(VALU_DEP_4) | instskip(NEXT) | instid1(VALU_DEP_4)
	v_fmac_f32_e32 v0, v13, v50
	v_fma_f32 v5, v18, v32, -v5
	s_delay_alu instid0(VALU_DEP_4) | instskip(NEXT) | instid1(VALU_DEP_4)
	v_fma_f32 v3, v11, v26, -v3
	v_fma_f32 v1, v14, v50, -v1
	global_load_b64 v[9:10], v93, s[8:9] offset:29160
	v_fma_f32 v7, v20, v52, -v6
	v_mul_f32_e32 v6, v20, v53
	ds_store_b64 v93, v[2:3] offset:16200
	v_mad_co_u64_u32 v[2:3], null, 0xffff9250, s12, v[15:16]
	v_fmac_f32_e32 v4, v17, v32
	v_fmac_f32_e32 v6, v19, v52
	s_clause 0x2
	global_load_b64 v[36:37], v93, s[8:9] offset:21600
	global_load_b64 v[46:47], v93, s[8:9] offset:27000
	;; [unrolled: 1-line block ×3, first 2 shown]
	scratch_store_b64 off, v[32:33], off offset:16 ; 8-byte Folded Spill
	s_wait_loadcnt 0xd
	scratch_store_b64 off, v[38:39], off offset:96 ; 8-byte Folded Spill
	s_wait_loadcnt 0xc
	scratch_store_b64 off, v[40:41], off offset:104 ; 8-byte Folded Spill
	v_add_nc_u32_e32 v3, s4, v3
	ds_store_b64 v93, v[0:1] offset:19440
	ds_store_b64 v93, v[4:5] offset:22680
	;; [unrolled: 1-line block ×3, first 2 shown]
	global_load_b64 v[0:1], v[15:16], off
	scratch_store_b64 off, v[50:51], off offset:168 ; 8-byte Folded Spill
	s_wait_loadcnt 0xb
	s_clause 0x5
	scratch_store_b64 off, v[58:59], off offset:216
	scratch_store_b64 off, v[52:53], off offset:160
	;; [unrolled: 1-line block ×6, first 2 shown]
	s_wait_loadcnt 0xa
	scratch_store_b64 off, v[42:43], off offset:112 ; 8-byte Folded Spill
	s_wait_loadcnt 0x4
	scratch_store_b64 off, v[9:10], off offset:8 ; 8-byte Folded Spill
	s_wait_loadcnt 0x0
	v_mul_f32_e32 v4, v1, v10
	v_mul_f32_e32 v8, v0, v10
	s_delay_alu instid0(VALU_DEP_2) | instskip(SKIP_1) | instid1(VALU_DEP_3)
	v_fmac_f32_e32 v4, v0, v9
	v_add_co_u32 v0, vcc_lo, v2, s2
	v_fma_f32 v5, v1, v9, -v8
	s_wait_alu 0xfffd
	v_add_co_ci_u32_e32 v1, vcc_lo, s3, v3, vcc_lo
	global_load_b64 v[2:3], v[2:3], off
	global_load_b64 v[8:9], v93, s[8:9] offset:4320
	ds_store_b64 v93, v[4:5] offset:29160
	s_wait_loadcnt 0x1
	v_mul_f32_e32 v6, v3, v57
	v_mul_f32_e32 v7, v2, v57
	s_wait_loadcnt 0x0
	scratch_store_b64 off, v[8:9], off offset:128 ; 8-byte Folded Spill
	v_fmac_f32_e32 v6, v2, v56
	v_add_co_u32 v2, vcc_lo, v0, s2
	v_fma_f32 v7, v3, v56, -v7
	s_wait_alu 0xfffd
	v_add_co_ci_u32_e32 v3, vcc_lo, s3, v1, vcc_lo
	global_load_b64 v[0:1], v[0:1], off
	ds_store_2addr_b64 v93, v[21:22], v[6:7] offset1:135
	v_add_co_u32 v6, vcc_lo, v2, s2
	s_wait_alu 0xfffd
	v_add_co_ci_u32_e32 v7, vcc_lo, s3, v3, vcc_lo
	global_load_b64 v[2:3], v[2:3], off
	s_wait_loadcnt 0x1
	v_mul_f32_e32 v4, v1, v9
	v_mul_f32_e32 v5, v0, v9
	s_delay_alu instid0(VALU_DEP_2) | instskip(SKIP_1) | instid1(VALU_DEP_3)
	v_fmac_f32_e32 v4, v0, v8
	v_add_co_u32 v0, vcc_lo, v6, s2
	v_fma_f32 v5, v1, v8, -v5
	s_wait_alu 0xfffd
	v_add_co_ci_u32_e32 v1, vcc_lo, s3, v7, vcc_lo
	s_delay_alu instid0(VALU_DEP_3) | instskip(SKIP_1) | instid1(VALU_DEP_2)
	v_add_co_u32 v8, vcc_lo, v0, s2
	s_wait_alu 0xfffd
	v_add_co_ci_u32_e32 v9, vcc_lo, s3, v1, vcc_lo
	s_delay_alu instid0(VALU_DEP_2)
	v_add_co_u32 v10, vcc_lo, v8, s2
	global_load_b64 v[0:1], v[0:1], off
	s_wait_alu 0xfffd
	v_add_co_ci_u32_e32 v11, vcc_lo, s3, v9, vcc_lo
	v_add_co_u32 v13, vcc_lo, v10, s2
	s_wait_alu 0xfffd
	s_delay_alu instid0(VALU_DEP_2) | instskip(NEXT) | instid1(VALU_DEP_2)
	v_add_co_ci_u32_e32 v14, vcc_lo, s3, v11, vcc_lo
	v_add_co_u32 v15, vcc_lo, v13, s2
	s_wait_alu 0xfffd
	s_delay_alu instid0(VALU_DEP_2) | instskip(NEXT) | instid1(VALU_DEP_2)
	v_add_co_ci_u32_e32 v16, vcc_lo, s3, v14, vcc_lo
	v_add_co_u32 v17, vcc_lo, v15, s2
	s_wait_alu 0xfffd
	s_delay_alu instid0(VALU_DEP_2) | instskip(NEXT) | instid1(VALU_DEP_1)
	v_add_co_ci_u32_e32 v18, vcc_lo, s3, v16, vcc_lo
	v_mad_co_u64_u32 v[19:20], null, 0xffff9250, s12, v[17:18]
	s_delay_alu instid0(VALU_DEP_1) | instskip(NEXT) | instid1(VALU_DEP_2)
	v_add_nc_u32_e32 v20, s4, v20
	v_add_co_u32 v21, vcc_lo, v19, s2
	s_wait_alu 0xfffd
	s_delay_alu instid0(VALU_DEP_2) | instskip(SKIP_3) | instid1(VALU_DEP_1)
	v_add_co_ci_u32_e32 v22, vcc_lo, s3, v20, vcc_lo
	global_load_b64 v[23:24], v[21:22], off
	s_wait_loadcnt 0x0
	v_mul_f32_e32 v25, v23, v49
	v_fma_f32 v25, v24, v48, -v25
	v_mul_f32_e32 v24, v24, v49
	s_delay_alu instid0(VALU_DEP_1)
	v_fmac_f32_e32 v24, v23, v48
	ds_store_2addr_b64 v12, v[4:5], v[24:25] offset0:28 offset1:163
	v_add_co_u32 v4, vcc_lo, v21, s2
	v_mul_f32_e32 v21, v2, v61
	s_wait_alu 0xfffd
	v_add_co_ci_u32_e32 v5, vcc_lo, s3, v22, vcc_lo
	v_add_nc_u32_e32 v12, 0x3000, v93
	s_delay_alu instid0(VALU_DEP_3) | instskip(SKIP_1) | instid1(VALU_DEP_1)
	v_fma_f32 v22, v3, v60, -v21
	v_mul_f32_e32 v21, v3, v61
	v_fmac_f32_e32 v21, v2, v60
	global_load_b64 v[2:3], v[4:5], off
	s_wait_loadcnt 0x0
	v_mul_f32_e32 v23, v2, v45
	s_delay_alu instid0(VALU_DEP_1) | instskip(SKIP_1) | instid1(VALU_DEP_1)
	v_fma_f32 v24, v3, v44, -v23
	v_mul_f32_e32 v23, v3, v45
	v_dual_fmac_f32 v23, v2, v44 :: v_dual_add_nc_u32 v2, 0x1c00, v93
	ds_store_2addr_b64 v2, v[21:22], v[23:24] offset0:49 offset1:184
	v_add_co_u32 v2, vcc_lo, v4, s2
	s_wait_alu 0xfffd
	v_add_co_ci_u32_e32 v3, vcc_lo, s3, v5, vcc_lo
	global_load_b64 v[4:5], v[6:7], off
	global_load_b64 v[21:22], v[2:3], off
	v_add_co_u32 v2, vcc_lo, v2, s2
	s_wait_alu 0xfffd
	v_add_co_ci_u32_e32 v3, vcc_lo, s3, v3, vcc_lo
	s_wait_loadcnt 0x1
	v_mul_f32_e32 v6, v4, v39
	s_delay_alu instid0(VALU_DEP_1) | instskip(SKIP_2) | instid1(VALU_DEP_1)
	v_fma_f32 v6, v5, v38, -v6
	v_mul_f32_e32 v5, v5, v39
	s_wait_loadcnt 0x0
	v_dual_fmac_f32 v5, v4, v38 :: v_dual_mul_f32 v4, v21, v41
	s_delay_alu instid0(VALU_DEP_1) | instskip(SKIP_2) | instid1(VALU_DEP_2)
	v_fma_f32 v23, v22, v40, -v4
	v_mul_f32_e32 v22, v22, v41
	v_add_nc_u32_e32 v4, 0x2800, v93
	v_fmac_f32_e32 v22, v21, v40
	s_delay_alu instid0(VALU_DEP_2) | instskip(SKIP_2) | instid1(VALU_DEP_1)
	v_mov_b32_e32 v130, v4
	ds_store_2addr_b64 v4, v[5:6], v[22:23] offset0:70 offset1:205
	v_mul_f32_e32 v4, v0, v59
	v_fma_f32 v5, v1, v58, -v4
	v_mul_f32_e32 v4, v1, v59
	s_delay_alu instid0(VALU_DEP_1) | instskip(SKIP_3) | instid1(VALU_DEP_1)
	v_fmac_f32_e32 v4, v0, v58
	global_load_b64 v[0:1], v[2:3], off
	s_wait_loadcnt 0x0
	v_mul_f32_e32 v6, v0, v43
	v_fma_f32 v7, v1, v42, -v6
	v_mul_f32_e32 v6, v1, v43
	s_delay_alu instid0(VALU_DEP_1)
	v_fmac_f32_e32 v6, v0, v42
	v_add_nc_u32_e32 v0, 0x3400, v93
	ds_store_2addr_b64 v0, v[4:5], v[6:7] offset0:91 offset1:226
	v_add_co_u32 v0, vcc_lo, v2, s2
	s_wait_alu 0xfffd
	v_add_co_ci_u32_e32 v1, vcc_lo, s3, v3, vcc_lo
	global_load_b64 v[2:3], v[8:9], off
	global_load_b64 v[5:6], v93, s[8:9] offset:17280
	s_clause 0x5
	scratch_store_b64 off, v[34:35], off offset:88
	scratch_store_b64 off, v[36:37], off offset:64
	;; [unrolled: 1-line block ×6, first 2 shown]
	s_wait_loadcnt 0x0
	v_mul_f32_e32 v4, v2, v6
	s_clause 0x1
	scratch_store_b64 off, v[5:6], off offset:120
	scratch_store_b64 off, v[62:63], off offset:208
	v_fma_f32 v4, v3, v5, -v4
	v_mul_f32_e32 v3, v3, v6
	s_delay_alu instid0(VALU_DEP_1)
	v_fmac_f32_e32 v3, v2, v5
	global_load_b64 v[5:6], v[0:1], off
	v_add_co_u32 v0, vcc_lo, v0, s2
	s_wait_alu 0xfffd
	v_add_co_ci_u32_e32 v1, vcc_lo, s3, v1, vcc_lo
	s_wait_loadcnt 0x0
	v_mul_f32_e32 v2, v5, v35
	s_delay_alu instid0(VALU_DEP_1) | instskip(SKIP_2) | instid1(VALU_DEP_1)
	v_fma_f32 v7, v6, v34, -v2
	v_mul_f32_e32 v6, v6, v35
	v_add_nc_u32_e32 v2, 0x4000, v93
	v_dual_fmac_f32 v6, v5, v34 :: v_dual_mov_b32 v131, v2
	ds_store_2addr_b64 v2, v[3:4], v[6:7] offset0:112 offset1:247
	global_load_b64 v[2:3], v[10:11], off
	global_load_b64 v[5:6], v[0:1], off
	v_add_co_u32 v0, vcc_lo, v0, s2
	s_wait_alu 0xfffd
	v_add_co_ci_u32_e32 v1, vcc_lo, s3, v1, vcc_lo
	s_wait_loadcnt 0x1
	v_dual_mov_b32 v215, v131 :: v_dual_mul_f32 v4, v2, v63
	s_delay_alu instid0(VALU_DEP_1) | instskip(SKIP_2) | instid1(VALU_DEP_1)
	v_fma_f32 v4, v3, v62, -v4
	v_mul_f32_e32 v3, v3, v63
	s_wait_loadcnt 0x0
	v_dual_fmac_f32 v3, v2, v62 :: v_dual_mul_f32 v2, v5, v37
	s_delay_alu instid0(VALU_DEP_1) | instskip(SKIP_2) | instid1(VALU_DEP_2)
	v_fma_f32 v7, v6, v36, -v2
	v_mul_f32_e32 v6, v6, v37
	v_add_nc_u32_e32 v2, 0x5000, v93
	v_fmac_f32_e32 v6, v5, v36
	ds_store_2addr_b64 v2, v[3:4], v[6:7] offset0:5 offset1:140
	global_load_b64 v[2:3], v[13:14], off
	global_load_b64 v[5:6], v[0:1], off
	v_add_co_u32 v0, vcc_lo, v0, s2
	s_wait_alu 0xfffd
	v_add_co_ci_u32_e32 v1, vcc_lo, s3, v1, vcc_lo
	s_wait_loadcnt 0x1
	v_mul_f32_e32 v4, v2, v31
	s_delay_alu instid0(VALU_DEP_1) | instskip(SKIP_2) | instid1(VALU_DEP_1)
	v_fma_f32 v4, v3, v30, -v4
	v_mul_f32_e32 v3, v3, v31
	s_wait_loadcnt 0x0
	v_dual_fmac_f32 v3, v2, v30 :: v_dual_mul_f32 v2, v5, v29
	s_delay_alu instid0(VALU_DEP_1) | instskip(SKIP_1) | instid1(VALU_DEP_1)
	v_fma_f32 v7, v6, v28, -v2
	v_mul_f32_e32 v6, v6, v29
	v_fmac_f32_e32 v6, v5, v28
	ds_store_2addr_b64 v243, v[3:4], v[6:7] offset0:26 offset1:161
	global_load_b64 v[2:3], v[15:16], off
	global_load_b64 v[5:6], v[0:1], off
	v_add_co_u32 v0, vcc_lo, v0, s2
	s_wait_alu 0xfffd
	v_add_co_ci_u32_e32 v1, vcc_lo, s3, v1, vcc_lo
	v_cmp_gt_u16_e32 vcc_lo, 15, v104
	s_wait_loadcnt 0x1
	v_mul_f32_e32 v4, v2, v47
	s_delay_alu instid0(VALU_DEP_1) | instskip(SKIP_2) | instid1(VALU_DEP_1)
	v_fma_f32 v4, v3, v46, -v4
	v_mul_f32_e32 v3, v3, v47
	s_wait_loadcnt 0x0
	v_dual_fmac_f32 v3, v2, v46 :: v_dual_mul_f32 v2, v5, v27
	s_delay_alu instid0(VALU_DEP_1) | instskip(SKIP_2) | instid1(VALU_DEP_2)
	v_fma_f32 v7, v6, v26, -v2
	v_mul_f32_e32 v6, v6, v27
	v_add_nc_u32_e32 v2, 0x6800, v93
	v_fmac_f32_e32 v6, v5, v26
	ds_store_2addr_b64 v2, v[3:4], v[6:7] offset0:47 offset1:182
	global_load_b64 v[2:3], v[17:18], off
	s_clause 0x1
	global_load_b64 v[5:6], v93, s[8:9] offset:30240
	global_load_b64 v[7:8], v93, s[8:9] offset:31320
	global_load_b64 v[0:1], v[0:1], off
	scratch_store_b64 off, v[54:55], off offset:176 ; 8-byte Folded Spill
	s_load_b128 s[4:7], s[6:7], 0x0
	s_wait_loadcnt 0x2
	v_mul_f32_e32 v4, v2, v6
	scratch_store_b64 off, v[5:6], off offset:40 ; 8-byte Folded Spill
	s_wait_loadcnt 0x1
	scratch_store_b64 off, v[7:8], off offset:48 ; 8-byte Folded Spill
	v_fma_f32 v4, v3, v5, -v4
	v_mul_f32_e32 v3, v3, v6
	s_wait_loadcnt 0x0
	s_delay_alu instid0(VALU_DEP_1) | instskip(NEXT) | instid1(VALU_DEP_1)
	v_dual_fmac_f32 v3, v2, v5 :: v_dual_mul_f32 v2, v0, v8
	v_fma_f32 v2, v1, v7, -v2
	v_dual_mul_f32 v1, v1, v8 :: v_dual_add_nc_u32 v8, 0x1800, v93
	s_delay_alu instid0(VALU_DEP_1) | instskip(NEXT) | instid1(VALU_DEP_2)
	v_dual_fmac_f32 v1, v0, v7 :: v_dual_add_nc_u32 v0, 0x7400, v93
	v_mov_b32_e32 v235, v8
	ds_store_2addr_b64 v0, v[3:4], v[1:2] offset0:68 offset1:203
	v_mov_b32_e32 v134, v0
	global_load_b64 v[0:1], v[19:20], off
	s_wait_loadcnt 0x0
	v_mul_f32_e32 v2, v0, v55
	s_delay_alu instid0(VALU_DEP_1) | instskip(SKIP_1) | instid1(VALU_DEP_1)
	v_fma_f32 v2, v1, v54, -v2
	v_mul_f32_e32 v1, v1, v55
	v_fmac_f32_e32 v1, v0, v54
	ds_store_b64 v93, v[1:2] offset:2160
	global_wb scope:SCOPE_SE
	s_wait_storecnt_dscnt 0x0
	s_wait_kmcnt 0x0
	s_barrier_signal -1
	s_barrier_wait -1
	global_inv scope:SCOPE_SE
	ds_load_2addr_b64 v[0:3], v93 offset1:135
	ds_load_2addr_b64 v[4:7], v8 offset0:42 offset1:177
	ds_load_2addr_b64 v[8:11], v12 offset0:84 offset1:219
	ds_load_2addr_b64 v[19:22], v210 offset0:62 offset1:197
	s_wait_dscnt 0x2
	v_add_f32_e32 v13, v0, v4
	s_wait_dscnt 0x1
	v_sub_f32_e32 v96, v4, v8
	s_wait_dscnt 0x0
	v_add_f32_e32 v14, v8, v19
	v_sub_f32_e32 v66, v9, v20
	v_sub_f32_e32 v82, v8, v4
	v_add_f32_e32 v15, v13, v8
	v_add_f32_e32 v13, v1, v5
	;; [unrolled: 1-line block ×3, first 2 shown]
	v_dual_sub_f32 v67, v8, v19 :: v_dual_sub_f32 v98, v5, v9
	v_sub_f32_e32 v83, v9, v5
	s_delay_alu instid0(VALU_DEP_4)
	v_add_f32_e32 v23, v13, v9
	v_add_f32_e32 v13, v2, v6
	;; [unrolled: 1-line block ×3, first 2 shown]
	v_sub_f32_e32 v64, v6, v10
	v_sub_f32_e32 v70, v10, v6
	v_add_f32_e32 v71, v11, v22
	v_add_f32_e32 v25, v13, v10
	v_dual_add_f32 v13, v3, v7 :: v_dual_sub_f32 v16, v10, v21
	v_sub_f32_e32 v65, v7, v11
	v_sub_f32_e32 v72, v11, v7
	s_delay_alu instid0(VALU_DEP_3)
	v_dual_add_f32 v26, v13, v11 :: v_dual_sub_f32 v13, v11, v22
	ds_load_2addr_b64 v[8:11], v209 offset0:40 offset1:175
	s_wait_dscnt 0x0
	v_add_f32_e32 v73, v6, v10
	v_sub_f32_e32 v18, v6, v10
	v_add_f32_e32 v6, v25, v21
	v_dual_sub_f32 v77, v10, v21 :: v_dual_sub_f32 v76, v21, v10
	v_dual_add_f32 v86, v4, v8 :: v_dual_add_nc_u32 v21, 0x3800, v93
	v_sub_f32_e32 v69, v4, v8
	v_add_f32_e32 v85, v5, v9
	v_sub_f32_e32 v17, v7, v11
	ds_load_2addr_b64 v[36:39], v21 offset0:98 offset1:233
	v_add_f32_e32 v4, v15, v19
	v_sub_f32_e32 v68, v5, v9
	v_add_f32_e32 v74, v7, v11
	v_add_f32_e32 v5, v23, v20
	;; [unrolled: 1-line block ×4, first 2 shown]
	v_mov_b32_e32 v152, v12
	v_dual_sub_f32 v101, v8, v19 :: v_dual_add_nc_u32 v12, 0x6c00, v93
	v_sub_f32_e32 v87, v19, v8
	v_dual_sub_f32 v78, v11, v22 :: v_dual_sub_f32 v75, v22, v11
	ds_load_2addr_b64 v[41:44], v12 offset0:54 offset1:189
	v_add_nc_u32_e32 v8, 0x800, v93
	v_add_nc_u32_e32 v22, 0x2000, v93
	v_sub_f32_e32 v102, v9, v20
	v_sub_f32_e32 v88, v20, v9
	v_dual_add_f32 v84, v5, v9 :: v_dual_add_f32 v19, v6, v10
	v_add_f32_e32 v20, v7, v11
	ds_load_2addr_b64 v[4:7], v8 offset0:14 offset1:149
	v_mov_b32_e32 v135, v8
	ds_load_2addr_b64 v[8:11], v22 offset0:56 offset1:191
	v_mov_b32_e32 v236, v12
	v_dual_mov_b32 v223, v22 :: v_dual_add_nc_u32 v12, 0x5400, v93
	s_wait_dscnt 0x0
	v_dual_mov_b32 v132, v21 :: v_dual_add_f32 v27, v6, v10
	v_dual_sub_f32 v79, v11, v44 :: v_dual_sub_f32 v110, v10, v38
	v_add_f32_e32 v90, v10, v43
	v_sub_f32_e32 v94, v38, v10
	v_add_f32_e32 v28, v7, v11
	v_sub_f32_e32 v80, v10, v43
	v_sub_f32_e32 v111, v11, v39
	v_add_f32_e32 v89, v11, v44
	v_dual_sub_f32 v95, v39, v11 :: v_dual_add_f32 v10, v4, v8
	v_add_f32_e32 v11, v5, v9
	v_sub_f32_e32 v21, v9, v42
	v_sub_f32_e32 v25, v8, v36
	v_add_f32_e32 v23, v8, v41
	v_sub_f32_e32 v26, v36, v8
	v_dual_sub_f32 v22, v8, v41 :: v_dual_add_f32 v31, v9, v42
	v_sub_f32_e32 v34, v9, v37
	v_dual_sub_f32 v33, v37, v9 :: v_dual_add_f32 v40, v10, v36
	v_add_f32_e32 v45, v11, v37
	ds_load_2addr_b64 v[8:11], v12 offset0:12 offset1:147
	v_dual_add_f32 v29, v27, v38 :: v_dual_add_f32 v30, v28, v39
	v_add_f32_e32 v82, v82, v87
	v_add_f32_e32 v96, v96, v101
	;; [unrolled: 1-line block ×3, first 2 shown]
	v_fma_f32 v23, -0.5, v23, v4
	s_wait_dscnt 0x0
	v_dual_add_f32 v29, v29, v10 :: v_dual_add_f32 v30, v30, v11
	v_dual_add_f32 v45, v45, v9 :: v_dual_add_f32 v112, v38, v10
	v_sub_f32_e32 v100, v39, v11
	v_add_f32_e32 v113, v39, v11
	v_dual_sub_f32 v99, v38, v10 :: v_dual_add_f32 v32, v36, v8
	v_sub_f32_e32 v27, v37, v9
	v_dual_add_f32 v35, v37, v9 :: v_dual_sub_f32 v28, v36, v8
	v_add_f32_e32 v38, v40, v8
	v_dual_sub_f32 v114, v43, v10 :: v_dual_sub_f32 v115, v10, v43
	v_dual_sub_f32 v116, v44, v11 :: v_dual_sub_f32 v117, v11, v44
	v_sub_f32_e32 v39, v41, v8
	v_sub_f32_e32 v37, v8, v41
	;; [unrolled: 1-line block ×4, first 2 shown]
	v_dual_add_f32 v118, v29, v43 :: v_dual_add_f32 v119, v30, v44
	v_add_f32_e32 v30, v45, v42
	ds_load_2addr_b64 v[8:11], v133 offset0:28 offset1:163
	ds_load_2addr_b64 v[43:46], v130 offset0:70 offset1:205
	;; [unrolled: 1-line block ×5, first 2 shown]
	v_add_f32_e32 v83, v83, v88
	v_add_f32_e32 v88, v95, v117
	global_wb scope:SCOPE_SE
	s_wait_dscnt 0x0
	s_barrier_signal -1
	s_barrier_wait -1
	global_inv scope:SCOPE_SE
	v_add_f32_e32 v51, v9, v44
	v_add_f32_e32 v59, v11, v46
	;; [unrolled: 1-line block ×3, first 2 shown]
	v_sub_f32_e32 v105, v44, v55
	v_add_f32_e32 v87, v94, v115
	v_dual_add_f32 v51, v51, v55 :: v_dual_mov_b32 v136, v12
	v_add_f32_e32 v121, v59, v57
	v_fma_f32 v94, -0.5, v86, v0
	v_add_f32_e32 v58, v10, v45
	v_sub_f32_e32 v48, v56, v45
	v_fma_f32 v0, -0.5, v14, v0
	v_add_f32_e32 v121, v121, v63
	v_dual_fmamk_f32 v95, v66, 0xbf737871, v94 :: v_dual_sub_f32 v42, v44, v107
	v_dual_sub_f32 v92, v55, v44 :: v_dual_add_f32 v101, v110, v114
	v_sub_f32_e32 v44, v45, v56
	v_fmac_f32_e32 v94, 0x3f737871, v66
	v_fma_f32 v110, -0.5, v85, v1
	v_mul_lo_u16 v14, v104, 10
	v_sub_f32_e32 v50, v46, v57
	v_add_f32_e32 v51, v51, v61
	v_add_f32_e32 v29, v38, v41
	v_dual_sub_f32 v38, v46, v109 :: v_dual_fmac_f32 v95, 0x3f167918, v68
	v_sub_f32_e32 v127, v107, v61
	v_add_f32_e32 v102, v111, v116
	v_fmamk_f32 v111, v67, 0x3f737871, v110
	v_fmac_f32_e32 v110, 0xbf737871, v67
	v_and_b32_e32 v14, 0xffff, v14
	v_dual_fmac_f32 v94, 0xbf167918, v68 :: v_dual_sub_f32 v103, v43, v54
	v_dual_add_f32 v52, v46, v109 :: v_dual_fmac_f32 v95, 0x3e9e377a, v82
	v_dual_add_f32 v120, v58, v56 :: v_dual_fmac_f32 v111, 0xbf167918, v69
	s_delay_alu instid0(VALU_DEP_4) | instskip(NEXT) | instid1(VALU_DEP_4)
	v_dual_fmac_f32 v110, 0x3f167918, v69 :: v_dual_lshlrev_b32 v117, 3, v14
	v_fmac_f32_e32 v94, 0x3e9e377a, v82
	v_fma_f32 v82, -0.5, v90, v6
	v_add_f32_e32 v49, v8, v43
	v_add_f32_e32 v47, v45, v108
	v_sub_f32_e32 v41, v45, v108
	v_dual_add_f32 v122, v54, v60 :: v_dual_fmac_f32 v111, 0x3e9e377a, v83
	v_dual_sub_f32 v45, v56, v62 :: v_dual_sub_f32 v58, v54, v60
	v_fmac_f32_e32 v110, 0x3e9e377a, v83
	v_fmamk_f32 v83, v100, 0xbf737871, v82
	v_fmac_f32_e32 v82, 0x3f737871, v100
	v_fma_f32 v85, -0.5, v89, v7
	v_sub_f32_e32 v97, v54, v43
	v_add_f32_e32 v49, v49, v54
	v_dual_sub_f32 v59, v55, v61 :: v_dual_add_f32 v54, v56, v62
	v_dual_fmac_f32 v83, 0x3f167918, v79 :: v_dual_sub_f32 v124, v106, v60
	v_fmac_f32_e32 v82, 0xbf167918, v79
	v_fmamk_f32 v86, v99, 0x3f737871, v85
	v_fmac_f32_e32 v85, 0xbf737871, v99
	v_fma_f32 v6, -0.5, v112, v6
	v_add_f32_e32 v12, v43, v106
	v_sub_f32_e32 v43, v43, v106
	v_sub_f32_e32 v53, v57, v46
	v_dual_sub_f32 v46, v57, v63 :: v_dual_fmac_f32 v85, 0x3f167918, v80
	v_dual_add_f32 v120, v120, v62 :: v_dual_fmac_f32 v83, 0x3e9e377a, v87
	v_sub_f32_e32 v56, v108, v62
	v_fmac_f32_e32 v82, 0x3e9e377a, v87
	v_fmamk_f32 v87, v79, 0x3f737871, v6
	v_fmac_f32_e32 v6, 0xbf737871, v79
	v_dual_sub_f32 v126, v61, v107 :: v_dual_fmac_f32 v85, 0x3e9e377a, v88
	v_fma_f32 v1, -0.5, v81, v1
	v_fma_f32 v7, -0.5, v113, v7
	s_delay_alu instid0(VALU_DEP_4)
	v_fmac_f32_e32 v6, 0xbf167918, v100
	v_mul_f32_e32 v113, 0xbf737871, v83
	v_mul_f32_e32 v115, 0xbe9e377a, v85
	v_fmamk_f32 v116, v69, 0xbf737871, v1
	v_fmac_f32_e32 v1, 0x3f737871, v69
	v_fmac_f32_e32 v6, 0x3e9e377a, v101
	;; [unrolled: 1-line block ×4, first 2 shown]
	v_add_f32_e32 v49, v49, v60
	v_fmac_f32_e32 v1, 0x3f167918, v67
	s_delay_alu instid0(VALU_DEP_4)
	v_dual_sub_f32 v125, v60, v106 :: v_dual_fmac_f32 v86, 0x3e9e377a, v88
	v_fmamk_f32 v88, v80, 0xbf737871, v7
	v_dual_fmac_f32 v7, 0x3f737871, v80 :: v_dual_sub_f32 v60, v63, v109
	v_fmac_f32_e32 v87, 0x3f167918, v100
	v_add_f32_e32 v123, v55, v61
	v_sub_f32_e32 v61, v62, v108
	s_delay_alu instid0(VALU_DEP_4) | instskip(NEXT) | instid1(VALU_DEP_4)
	v_dual_fmac_f32 v7, 0x3f167918, v99 :: v_dual_add_f32 v62, v49, v106
	v_fmac_f32_e32 v87, 0x3e9e377a, v101
	v_add_f32_e32 v49, v120, v108
	v_add_f32_e32 v55, v57, v63
	s_delay_alu instid0(VALU_DEP_4)
	v_fmac_f32_e32 v7, 0x3e9e377a, v102
	v_mul_f32_e32 v14, 0xbf4f1bbd, v6
	v_mul_f32_e32 v89, 0x3f4f1bbd, v87
	;; [unrolled: 1-line block ×3, first 2 shown]
	v_sub_f32_e32 v57, v109, v63
	v_add_f32_e32 v63, v51, v107
	v_fmac_f32_e32 v14, 0x3f167918, v7
	v_fmac_f32_e32 v88, 0xbf167918, v99
	v_mul_f32_e32 v7, 0xbf4f1bbd, v7
	v_add_f32_e32 v51, v121, v109
	v_sub_f32_e32 v81, v15, v118
	v_fma_f32 v4, -0.5, v32, v4
	v_fmac_f32_e32 v88, 0x3e9e377a, v102
	v_fmac_f32_e32 v7, 0xbf167918, v6
	s_delay_alu instid0(VALU_DEP_2) | instskip(SKIP_3) | instid1(VALU_DEP_3)
	v_fmac_f32_e32 v89, 0x3f167918, v88
	v_fmac_f32_e32 v1, 0x3e9e377a, v98
	v_mul_f32_e32 v112, 0x3f737871, v86
	v_dual_fmac_f32 v113, 0x3e9e377a, v86 :: v_dual_add_f32 v86, v84, v119
	v_sub_f32_e32 v69, v1, v7
	s_delay_alu instid0(VALU_DEP_3) | instskip(SKIP_3) | instid1(VALU_DEP_3)
	v_fmac_f32_e32 v112, 0x3e9e377a, v83
	v_dual_fmamk_f32 v83, v68, 0x3f737871, v0 :: v_dual_add_f32 v80, v1, v7
	v_dual_add_f32 v1, v64, v77 :: v_dual_add_f32 v64, v65, v78
	v_fma_f32 v65, -0.5, v123, v9
	v_fmac_f32_e32 v83, 0x3f167918, v66
	v_fma_f32 v9, -0.5, v91, v9
	v_dual_fmac_f32 v0, 0xbf737871, v68 :: v_dual_add_f32 v107, v111, v113
	s_delay_alu instid0(VALU_DEP_4) | instskip(NEXT) | instid1(VALU_DEP_4)
	v_fmamk_f32 v7, v43, 0xbf737871, v65
	v_fmac_f32_e32 v83, 0x3e9e377a, v96
	v_fmac_f32_e32 v116, 0xbf167918, v67
	s_delay_alu instid0(VALU_DEP_4) | instskip(NEXT) | instid1(VALU_DEP_3)
	v_dual_fmac_f32 v0, 0xbf167918, v66 :: v_dual_sub_f32 v67, v110, v115
	v_dual_fmac_f32 v90, 0x3f4f1bbd, v88 :: v_dual_add_f32 v87, v83, v89
	v_dual_sub_f32 v83, v83, v89 :: v_dual_mul_f32 v114, 0xbe9e377a, v82
	s_delay_alu instid0(VALU_DEP_3) | instskip(SKIP_3) | instid1(VALU_DEP_4)
	v_fmac_f32_e32 v0, 0x3e9e377a, v96
	v_fmac_f32_e32 v7, 0xbf167918, v58
	v_fmac_f32_e32 v116, 0x3e9e377a, v98
	v_add_f32_e32 v106, v95, v112
	v_dual_fmac_f32 v114, 0x3f737871, v85 :: v_dual_add_f32 v79, v0, v14
	v_sub_f32_e32 v68, v0, v14
	v_fma_f32 v0, -0.5, v122, v8
	v_add_f32_e32 v85, v15, v118
	s_delay_alu instid0(VALU_DEP_4)
	v_add_f32_e32 v108, v94, v114
	v_dual_add_f32 v88, v116, v90 :: v_dual_add_f32 v109, v110, v115
	v_sub_f32_e32 v82, v84, v119
	v_sub_f32_e32 v66, v94, v114
	v_fmamk_f32 v6, v42, 0x3f737871, v0
	ds_store_b128 v117, v[85:88]
	ds_store_b128 v117, v[106:109] offset:16
	v_dual_sub_f32 v85, v95, v112 :: v_dual_sub_f32 v84, v116, v90
	v_sub_f32_e32 v86, v111, v113
	scratch_store_b32 off, v117, off offset:248 ; 4-byte Folded Spill
	ds_store_b128 v117, v[79:82] offset:32
	ds_store_b128 v117, v[83:86] offset:48
	;; [unrolled: 1-line block ×3, first 2 shown]
	v_dual_add_f32 v67, v103, v124 :: v_dual_fmac_f32 v6, 0x3f167918, v59
	v_add_f32_e32 v66, v105, v127
	v_dual_add_f32 v14, v97, v125 :: v_dual_fmac_f32 v65, 0x3f737871, v43
	v_fmac_f32_e32 v0, 0xbf737871, v42
	s_delay_alu instid0(VALU_DEP_3) | instskip(SKIP_1) | instid1(VALU_DEP_4)
	v_dual_fmac_f32 v6, 0x3e9e377a, v67 :: v_dual_fmac_f32 v7, 0x3e9e377a, v66
	v_add_co_u32 v112, null, 0x2a3, v128
	v_fmac_f32_e32 v65, 0x3f167918, v58
	s_delay_alu instid0(VALU_DEP_3)
	v_mul_f32_e32 v69, 0x3f4f1bbd, v6
	v_mul_f32_e32 v68, 0xbf167918, v6
	v_add_f32_e32 v6, v70, v76
	v_fma_f32 v70, -0.5, v71, v3
	v_fma_f32 v71, -0.5, v73, v2
	v_fmac_f32_e32 v69, 0x3f167918, v7
	v_dual_fmac_f32 v68, 0x3f4f1bbd, v7 :: v_dual_fmac_f32 v3, -0.5, v74
	s_delay_alu instid0(VALU_DEP_3)
	v_dual_add_f32 v7, v72, v75 :: v_dual_fmamk_f32 v72, v13, 0xbf737871, v71
	v_fmac_f32_e32 v71, 0x3f737871, v13
	v_fma_f32 v2, -0.5, v24, v2
	v_fmamk_f32 v79, v18, 0xbf737871, v70
	v_fmac_f32_e32 v70, 0x3f737871, v18
	v_fmac_f32_e32 v72, 0x3f167918, v17
	;; [unrolled: 1-line block ×3, first 2 shown]
	v_fmamk_f32 v73, v16, 0x3f737871, v3
	v_fmac_f32_e32 v3, 0xbf737871, v16
	v_fmamk_f32 v78, v17, 0x3f737871, v2
	v_fmac_f32_e32 v70, 0x3f167918, v16
	v_fmac_f32_e32 v72, 0x3e9e377a, v6
	;; [unrolled: 1-line block ×5, first 2 shown]
	v_fma_f32 v6, -0.5, v12, v8
	v_fmac_f32_e32 v70, 0x3e9e377a, v64
	v_fmac_f32_e32 v78, 0x3f167918, v13
	;; [unrolled: 1-line block ×4, first 2 shown]
	v_fmamk_f32 v7, v59, 0xbf737871, v6
	v_fmac_f32_e32 v2, 0xbf737871, v17
	v_dual_fmac_f32 v78, 0x3e9e377a, v1 :: v_dual_add_f32 v17, v25, v39
	v_fmac_f32_e32 v6, 0x3f737871, v59
	s_delay_alu instid0(VALU_DEP_4) | instskip(SKIP_2) | instid1(VALU_DEP_4)
	v_fmac_f32_e32 v7, 0x3f167918, v42
	v_dual_fmac_f32 v79, 0xbf167918, v16 :: v_dual_add_f32 v8, v92, v126
	v_fmac_f32_e32 v2, 0xbf167918, v13
	v_fmac_f32_e32 v6, 0xbf167918, v42
	s_delay_alu instid0(VALU_DEP_4) | instskip(NEXT) | instid1(VALU_DEP_4)
	v_fmac_f32_e32 v7, 0x3e9e377a, v14
	v_fmac_f32_e32 v79, 0x3e9e377a, v64
	v_add_co_u32 v24, s2, 0x87, v128
	s_delay_alu instid0(VALU_DEP_4)
	v_fmac_f32_e32 v6, 0x3e9e377a, v14
	v_fmamk_f32 v14, v58, 0x3f737871, v9
	v_fmac_f32_e32 v9, 0xbf737871, v58
	v_fmac_f32_e32 v2, 0x3e9e377a, v1
	v_mul_f32_e32 v77, 0xbf737871, v7
	v_fmac_f32_e32 v65, 0x3e9e377a, v66
	v_fmac_f32_e32 v0, 0xbf167918, v59
	;; [unrolled: 1-line block ×3, first 2 shown]
	v_mul_f32_e32 v74, 0xbe9e377a, v6
	s_wait_alu 0xf1ff
	v_add_co_ci_u32_e64 v80, null, 0, 0, s2
	s_delay_alu instid0(VALU_DEP_3) | instskip(SKIP_2) | instid1(VALU_DEP_3)
	v_dual_fmac_f32 v0, 0x3e9e377a, v67 :: v_dual_fmac_f32 v9, 0x3e9e377a, v8
	v_add_co_u32 v105, s2, 0x195, v128
	v_mov_b32_e32 v95, v136
	v_mul_f32_e32 v13, 0xbf4f1bbd, v0
	s_delay_alu instid0(VALU_DEP_4) | instskip(SKIP_1) | instid1(VALU_DEP_3)
	v_mul_f32_e32 v75, 0xbe9e377a, v9
	v_add_co_u32 v113, null, 0x21c, v128
	v_dual_mov_b32 v94, v152 :: v_dual_fmac_f32 v13, 0x3f167918, v65
	s_delay_alu instid0(VALU_DEP_3) | instskip(SKIP_3) | instid1(VALU_DEP_4)
	v_fmac_f32_e32 v75, 0xbf737871, v6
	v_add_f32_e32 v6, v19, v62
	v_add_co_u32 v114, null, 0x32a, v128
	v_add_co_u32 v115, null, 0x3b1, v128
	v_sub_f32_e32 v1, v3, v75
	v_fmac_f32_e32 v14, 0xbf167918, v43
	v_add_co_u32 v116, null, 0x438, v128
	v_add_co_u32 v117, null, 0x4bf, v128
	s_delay_alu instid0(VALU_DEP_3) | instskip(SKIP_2) | instid1(VALU_DEP_3)
	v_fmac_f32_e32 v14, 0x3e9e377a, v8
	v_add_f32_e32 v8, v78, v69
	v_add_f32_e32 v84, v3, v75
	v_mul_f32_e32 v76, 0x3f737871, v14
	v_fmac_f32_e32 v77, 0x3e9e377a, v14
	v_mul_u32_u24_e32 v14, 10, v24
	s_delay_alu instid0(VALU_DEP_3) | instskip(NEXT) | instid1(VALU_DEP_2)
	v_fmac_f32_e32 v76, 0x3e9e377a, v7
	v_dual_add_f32 v7, v20, v63 :: v_dual_lshlrev_b32 v12, 3, v14
	v_mul_f32_e32 v14, 0xbf4f1bbd, v65
	s_delay_alu instid0(VALU_DEP_3) | instskip(NEXT) | instid1(VALU_DEP_2)
	v_dual_add_f32 v82, v73, v77 :: v_dual_add_f32 v81, v72, v76
	v_fmac_f32_e32 v14, 0xbf167918, v0
	v_fmac_f32_e32 v74, 0x3f737871, v9
	s_delay_alu instid0(VALU_DEP_1)
	v_add_f32_e32 v83, v71, v74
	v_add_f32_e32 v9, v79, v68
	ds_store_b128 v12, v[6:9]
	ds_store_b128 v12, v[81:84] offset:16
	v_add_f32_e32 v7, v70, v14
	v_dual_sub_f32 v8, v19, v62 :: v_dual_sub_f32 v9, v20, v63
	v_add_f32_e32 v6, v2, v13
	v_sub_f32_e32 v81, v78, v69
	v_sub_f32_e32 v83, v72, v76
	;; [unrolled: 1-line block ×3, first 2 shown]
	v_dual_sub_f32 v84, v73, v77 :: v_dual_add_f32 v19, v44, v56
	scratch_store_b32 off, v12, off offset:496 ; 4-byte Folded Spill
	ds_store_b128 v12, v[6:9] offset:32
	ds_store_b128 v12, v[81:84] offset:48
	v_fma_f32 v9, -0.5, v54, v10
	v_fma_f32 v6, -0.5, v55, v11
	v_dual_sub_f32 v0, v71, v74 :: v_dual_fmac_f32 v11, -0.5, v52
	s_delay_alu instid0(VALU_DEP_3) | instskip(SKIP_1) | instid1(VALU_DEP_3)
	v_fmamk_f32 v8, v38, 0x3f737871, v9
	v_fmac_f32_e32 v9, 0xbf737871, v38
	v_fmamk_f32 v7, v45, 0x3f737871, v11
	v_fmac_f32_e32 v11, 0xbf737871, v45
	s_delay_alu instid0(VALU_DEP_4) | instskip(NEXT) | instid1(VALU_DEP_4)
	v_fmac_f32_e32 v8, 0x3f167918, v46
	v_fmac_f32_e32 v9, 0xbf167918, v46
	s_delay_alu instid0(VALU_DEP_4) | instskip(NEXT) | instid1(VALU_DEP_4)
	v_fmac_f32_e32 v7, 0xbf167918, v41
	;; [unrolled: 3-line block ×3, first 2 shown]
	v_fmac_f32_e32 v9, 0x3e9e377a, v19
	s_delay_alu instid0(VALU_DEP_2)
	v_mul_f32_e32 v25, 0x3f4f1bbd, v8
	v_add_f32_e32 v18, v34, v40
	v_mul_f32_e32 v34, 0xbf167918, v8
	v_add_f32_e32 v8, v26, v37
	v_fma_f32 v26, -0.5, v35, v5
	v_fmac_f32_e32 v5, -0.5, v31
	v_fmamk_f32 v31, v27, 0xbf737871, v23
	v_dual_fmac_f32 v23, 0x3f737871, v27 :: v_dual_add_f32 v20, v50, v57
	s_delay_alu instid0(VALU_DEP_2) | instskip(SKIP_1) | instid1(VALU_DEP_3)
	v_fmac_f32_e32 v31, 0x3f167918, v21
	v_sub_f32_e32 v2, v2, v13
	v_fmac_f32_e32 v23, 0xbf167918, v21
	v_sub_f32_e32 v3, v70, v14
	v_fmamk_f32 v13, v41, 0xbf737871, v6
	v_fmac_f32_e32 v31, 0x3e9e377a, v8
	v_fmac_f32_e32 v6, 0x3f737871, v41
	;; [unrolled: 1-line block ×3, first 2 shown]
	ds_store_b128 v12, v[0:3] offset:64
	v_fma_f32 v2, -0.5, v47, v10
	v_dual_add_f32 v0, v48, v61 :: v_dual_add_f32 v1, v53, v60
	v_fmac_f32_e32 v13, 0xbf167918, v45
	v_fmac_f32_e32 v6, 0x3f167918, v45
	s_delay_alu instid0(VALU_DEP_4) | instskip(SKIP_3) | instid1(VALU_DEP_4)
	v_fmamk_f32 v3, v46, 0xbf737871, v2
	v_fmac_f32_e32 v2, 0x3f737871, v46
	v_dual_add_f32 v8, v33, v36 :: v_dual_fmamk_f32 v33, v28, 0x3f737871, v5
	v_fmac_f32_e32 v5, 0xbf737871, v28
	v_fmac_f32_e32 v3, 0x3f167918, v38
	s_delay_alu instid0(VALU_DEP_4)
	v_fmac_f32_e32 v2, 0xbf167918, v38
	v_fmac_f32_e32 v13, 0x3e9e377a, v20
	;; [unrolled: 1-line block ×7, first 2 shown]
	v_mul_f32_e32 v35, 0x3f737871, v7
	v_fmamk_f32 v32, v22, 0xbf737871, v26
	v_dual_fmac_f32 v2, 0x3e9e377a, v0 :: v_dual_fmac_f32 v11, 0x3e9e377a, v1
	v_fmac_f32_e32 v34, 0x3f4f1bbd, v13
	s_delay_alu instid0(VALU_DEP_4)
	v_fmac_f32_e32 v35, 0x3e9e377a, v3
	v_mul_f32_e32 v36, 0xbf737871, v3
	v_fmac_f32_e32 v33, 0x3e9e377a, v8
	v_fmac_f32_e32 v32, 0xbf167918, v28
	;; [unrolled: 1-line block ×3, first 2 shown]
	v_add_co_u32 v8, null, 0x10e, v128
	v_mul_f32_e32 v10, 0xbe9e377a, v2
	s_delay_alu instid0(VALU_DEP_4) | instskip(SKIP_1) | instid1(VALU_DEP_4)
	v_fmac_f32_e32 v32, 0x3e9e377a, v18
	v_add_f32_e32 v0, v29, v49
	v_mul_u32_u24_e32 v13, 10, v8
	v_dual_add_f32 v1, v30, v51 :: v_dual_fmac_f32 v26, 0x3f737871, v22
	s_delay_alu instid0(VALU_DEP_4) | instskip(NEXT) | instid1(VALU_DEP_3)
	v_dual_add_f32 v3, v32, v34 :: v_dual_fmac_f32 v6, 0x3e9e377a, v20
	v_dual_add_f32 v13, v31, v35 :: v_dual_lshlrev_b32 v12, 3, v13
	v_fmac_f32_e32 v10, 0x3f737871, v11
	v_mul_f32_e32 v11, 0xbe9e377a, v11
	s_delay_alu instid0(VALU_DEP_2) | instskip(NEXT) | instid1(VALU_DEP_2)
	v_dual_fmac_f32 v26, 0x3f167918, v28 :: v_dual_add_f32 v15, v23, v10
	v_fmac_f32_e32 v11, 0xbf737871, v2
	v_fmac_f32_e32 v36, 0x3e9e377a, v7
	v_fmamk_f32 v7, v21, 0x3f737871, v4
	v_fmac_f32_e32 v4, 0xbf737871, v21
	v_fmac_f32_e32 v26, 0x3e9e377a, v18
	v_add_f32_e32 v16, v5, v11
	s_delay_alu instid0(VALU_DEP_4) | instskip(NEXT) | instid1(VALU_DEP_1)
	v_dual_add_f32 v14, v33, v36 :: v_dual_fmac_f32 v7, 0x3f167918, v27
	v_fmac_f32_e32 v7, 0x3e9e377a, v17
	s_delay_alu instid0(VALU_DEP_1)
	v_add_f32_e32 v2, v7, v25
	ds_store_b128 v12, v[0:3]
	ds_store_b128 v12, v[13:16] offset:16
	v_sub_f32_e32 v13, v7, v25
	v_mul_f32_e32 v7, 0xbf4f1bbd, v9
	v_dual_sub_f32 v2, v29, v49 :: v_dual_sub_f32 v3, v30, v51
	v_dual_sub_f32 v15, v31, v35 :: v_dual_sub_f32 v14, v32, v34
	s_delay_alu instid0(VALU_DEP_3)
	v_fmac_f32_e32 v7, 0x3f167918, v6
	v_mul_f32_e32 v6, 0xbf4f1bbd, v6
	scratch_store_b32 off, v12, off offset:444 ; 4-byte Folded Spill
	v_fmac_f32_e32 v6, 0xbf167918, v9
	v_fmac_f32_e32 v4, 0xbf167918, v27
	v_sub_f32_e32 v16, v33, v36
	v_and_b32_e32 v9, 0xffff, v8
	s_delay_alu instid0(VALU_DEP_3) | instskip(NEXT) | instid1(VALU_DEP_2)
	v_dual_add_f32 v1, v26, v6 :: v_dual_fmac_f32 v4, 0x3e9e377a, v17
	v_mul_u32_u24_e32 v52, 0xcccd, v9
	s_wait_alu 0xf1ff
	v_add_co_ci_u32_e64 v9, null, 0, 0, s2
	s_delay_alu instid0(VALU_DEP_3)
	v_add_f32_e32 v0, v4, v7
	ds_store_b128 v12, v[0:3] offset:32
	ds_store_b128 v12, v[13:16] offset:48
	v_dual_sub_f32 v1, v5, v11 :: v_dual_sub_f32 v0, v23, v10
	v_dual_sub_f32 v2, v4, v7 :: v_dual_sub_f32 v3, v26, v6
	v_and_b32_e32 v10, 0xff, v104
	ds_store_b128 v12, v[0:3] offset:64
	v_and_b32_e32 v0, 0xffff, v24
	v_mul_lo_u16 v1, 0xcd, v10
	global_wb scope:SCOPE_SE
	s_wait_storecnt_dscnt 0x0
	s_barrier_signal -1
	s_barrier_wait -1
	v_mul_u32_u24_e32 v0, 0xcccd, v0
	v_lshrrev_b16 v4, 11, v1
	global_inv scope:SCOPE_SE
	v_lshrrev_b32_e32 v27, 19, v0
	v_mul_lo_u16 v0, v4, 10
	s_delay_alu instid0(VALU_DEP_2) | instskip(NEXT) | instid1(VALU_DEP_2)
	v_mul_lo_u16 v1, v27, 10
	v_sub_nc_u16 v0, v104, v0
	s_delay_alu instid0(VALU_DEP_2) | instskip(NEXT) | instid1(VALU_DEP_2)
	v_sub_nc_u16 v41, v24, v1
	v_and_b32_e32 v5, 0xff, v0
	s_delay_alu instid0(VALU_DEP_2) | instskip(SKIP_1) | instid1(VALU_DEP_2)
	v_lshlrev_b16 v0, 2, v41
	v_mad_u16 v27, v27, 50, v41
	v_and_b32_e32 v0, 0xffff, v0
	s_delay_alu instid0(VALU_DEP_2) | instskip(NEXT) | instid1(VALU_DEP_2)
	v_and_b32_e32 v27, 0xffff, v27
	v_lshlrev_b32_e32 v6, 3, v0
	v_lshlrev_b32_e32 v0, 5, v5
	s_clause 0x2
	global_load_b128 v[28:31], v6, s[10:11]
	global_load_b128 v[15:18], v0, s[10:11]
	global_load_b128 v[20:23], v0, s[10:11] offset:16
	ds_load_2addr_b64 v[0:3], v235 offset0:42 offset1:177
	s_wait_loadcnt_dscnt 0x100
	v_mul_f32_e32 v7, v1, v16
	v_mul_f32_e32 v42, v0, v16
	scratch_store_b128 off, v[15:18], off offset:428 ; 16-byte Folded Spill
	s_wait_loadcnt 0x0
	scratch_store_b128 off, v[20:23], off offset:396 ; 16-byte Folded Spill
	v_fma_f32 v43, v0, v15, -v7
	v_fmac_f32_e32 v42, v1, v15
	global_load_b128 v[12:15], v6, s[10:11] offset:16
	v_mul_f32_e32 v0, v3, v29
	v_mul_f32_e32 v11, v2, v29
	scratch_store_b128 off, v[28:31], off offset:380 ; 16-byte Folded Spill
	v_fma_f32 v16, v2, v28, -v0
	v_fmac_f32_e32 v11, v3, v28
	ds_load_2addr_b64 v[0:3], v152 offset0:84 offset1:219
	s_wait_dscnt 0x0
	v_mul_f32_e32 v6, v1, v18
	v_mul_f32_e32 v44, v0, v18
	s_delay_alu instid0(VALU_DEP_2) | instskip(NEXT) | instid1(VALU_DEP_2)
	v_fma_f32 v45, v0, v17, -v6
	v_fmac_f32_e32 v44, v1, v17
	v_mul_f32_e32 v0, v3, v31
	v_mul_f32_e32 v17, v2, v31
	s_delay_alu instid0(VALU_DEP_2) | instskip(NEXT) | instid1(VALU_DEP_2)
	v_fma_f32 v18, v2, v30, -v0
	v_fmac_f32_e32 v17, v3, v30
	ds_load_2addr_b64 v[0:3], v210 offset0:62 offset1:197
	s_wait_dscnt 0x0
	v_mul_f32_e32 v6, v1, v21
	v_mul_f32_e32 v46, v0, v21
	s_delay_alu instid0(VALU_DEP_2) | instskip(NEXT) | instid1(VALU_DEP_2)
	v_fma_f32 v48, v0, v20, -v6
	v_fmac_f32_e32 v46, v1, v20
	v_lshrrev_b32_e32 v20, 19, v52
	s_delay_alu instid0(VALU_DEP_3)
	v_sub_f32_e32 v38, v45, v48
	s_wait_loadcnt 0x0
	v_mul_f32_e32 v0, v3, v13
	v_mul_f32_e32 v19, v2, v13
	scratch_store_b128 off, v[12:15], off offset:364 ; 16-byte Folded Spill
	v_and_b32_e32 v13, 0xffff, v105
	v_fma_f32 v25, v2, v12, -v0
	v_fmac_f32_e32 v19, v3, v12
	ds_load_2addr_b64 v[0:3], v209 offset0:40 offset1:175
	v_mul_u32_u24_e32 v13, 0xcccd, v13
	s_delay_alu instid0(VALU_DEP_1)
	v_lshrrev_b32_e32 v21, 19, v13
	v_mul_lo_u16 v13, v20, 10
	s_wait_dscnt 0x0
	v_mul_f32_e32 v6, v1, v23
	v_mul_f32_e32 v50, v0, v23
	;; [unrolled: 1-line block ×3, first 2 shown]
	v_sub_nc_u16 v23, v8, v13
	v_mul_lo_u16 v13, v21, 10
	v_fma_f32 v51, v0, v22, -v6
	v_mul_f32_e32 v0, v3, v15
	v_dual_fmac_f32 v50, v1, v22 :: v_dual_and_b32 v15, 0xffff, v112
	s_delay_alu instid0(VALU_DEP_4) | instskip(NEXT) | instid1(VALU_DEP_4)
	v_sub_nc_u16 v28, v105, v13
	v_sub_f32_e32 v1, v51, v48
	s_delay_alu instid0(VALU_DEP_4) | instskip(SKIP_4) | instid1(VALU_DEP_4)
	v_fma_f32 v40, v2, v14, -v0
	v_and_b32_e32 v0, 0xffff, v4
	v_mul_u32_u24_e32 v15, 0xcccd, v15
	v_add_f32_e32 v4, v45, v48
	v_sub_f32_e32 v36, v43, v51
	v_mul_u32_u24_e32 v0, 50, v0
	s_delay_alu instid0(VALU_DEP_4) | instskip(NEXT) | instid1(VALU_DEP_2)
	v_lshrrev_b32_e32 v15, 19, v15
	v_add_lshl_u32 v12, v0, v5, 3
	v_sub_f32_e32 v0, v43, v45
	s_delay_alu instid0(VALU_DEP_1) | instskip(SKIP_3) | instid1(VALU_DEP_1)
	v_dual_add_f32 v47, v0, v1 :: v_dual_fmac_f32 v26, v3, v14
	v_and_b32_e32 v14, 0xffff, v113
	ds_load_2addr_b64 v[0:3], v93 offset1:135
	v_mul_u32_u24_e32 v14, 0xcccd, v14
	v_lshrrev_b32_e32 v22, 19, v14
	v_lshlrev_b16 v14, 2, v28
	s_delay_alu instid0(VALU_DEP_2) | instskip(NEXT) | instid1(VALU_DEP_2)
	v_mul_lo_u16 v13, v22, 10
	v_and_b32_e32 v31, 0xffff, v14
	v_dual_sub_f32 v37, v44, v46 :: v_dual_sub_f32 v6, v42, v44
	s_delay_alu instid0(VALU_DEP_3)
	v_sub_nc_u16 v29, v113, v13
	v_mul_lo_u16 v13, v15, 10
	s_wait_dscnt 0x0
	v_fma_f32 v4, -0.5, v4, v0
	v_lshlrev_b32_e32 v31, 3, v31
	v_sub_f32_e32 v35, v42, v50
	v_lshlrev_b16 v14, 2, v29
	v_sub_nc_u16 v30, v112, v13
	v_lshlrev_b16 v13, 2, v23
	s_delay_alu instid0(VALU_DEP_3) | instskip(NEXT) | instid1(VALU_DEP_3)
	v_and_b32_e32 v32, 0xffff, v14
	v_lshlrev_b16 v14, 2, v30
	s_delay_alu instid0(VALU_DEP_3) | instskip(NEXT) | instid1(VALU_DEP_2)
	v_and_b32_e32 v13, 0xffff, v13
	v_and_b32_e32 v33, 0xffff, v14
	s_delay_alu instid0(VALU_DEP_2) | instskip(NEXT) | instid1(VALU_DEP_2)
	v_dual_fmamk_f32 v13, v35, 0x3f737871, v4 :: v_dual_lshlrev_b32 v34, 3, v13
	v_lshlrev_b32_e32 v33, 3, v33
	s_delay_alu instid0(VALU_DEP_2) | instskip(SKIP_2) | instid1(VALU_DEP_3)
	v_fmac_f32_e32 v13, 0x3f167918, v37
	v_add_f32_e32 v5, v44, v46
	v_sub_f32_e32 v7, v50, v46
	v_fmac_f32_e32 v13, 0x3e9e377a, v47
	s_delay_alu instid0(VALU_DEP_3) | instskip(NEXT) | instid1(VALU_DEP_3)
	v_fma_f32 v5, -0.5, v5, v1
	v_add_f32_e32 v49, v6, v7
	s_delay_alu instid0(VALU_DEP_2) | instskip(SKIP_2) | instid1(VALU_DEP_3)
	v_dual_add_f32 v7, v1, v42 :: v_dual_fmamk_f32 v14, v36, 0xbf737871, v5
	v_fmac_f32_e32 v5, 0x3f737871, v36
	v_lshlrev_b32_e32 v32, 3, v32
	v_add_f32_e32 v7, v7, v44
	s_delay_alu instid0(VALU_DEP_3)
	v_fmac_f32_e32 v5, 0x3f167918, v38
	s_clause 0x7
	global_load_b128 v[204:207], v34, s[10:11]
	global_load_b128 v[196:199], v34, s[10:11] offset:16
	global_load_b128 v[200:203], v31, s[10:11]
	global_load_b128 v[192:195], v31, s[10:11] offset:16
	global_load_b128 v[188:191], v32, s[10:11]
	global_load_b128 v[180:183], v32, s[10:11] offset:16
	global_load_b128 v[184:187], v33, s[10:11]
	global_load_b128 v[176:179], v33, s[10:11] offset:16
	v_add_f32_e32 v7, v7, v46
	ds_load_2addr_b64 v[52:55], v135 offset0:14 offset1:149
	ds_load_2addr_b64 v[56:59], v223 offset0:56 offset1:191
	;; [unrolled: 1-line block ×10, first 2 shown]
	v_dual_fmac_f32 v5, 0x3e9e377a, v49 :: v_dual_add_f32 v6, v0, v43
	v_fmac_f32_e32 v14, 0xbf167918, v38
	v_add_f32_e32 v7, v7, v50
	global_wb scope:SCOPE_SE
	s_wait_storecnt 0x0
	s_wait_loadcnt_dscnt 0x0
	s_barrier_signal -1
	v_add_f32_e32 v6, v6, v45
	v_fmac_f32_e32 v14, 0x3e9e377a, v49
	s_barrier_wait -1
	global_inv scope:SCOPE_SE
	v_dual_sub_f32 v31, v19, v26 :: v_dual_add_f32 v6, v6, v48
	v_dual_sub_f32 v33, v16, v40 :: v_dual_sub_f32 v32, v18, v25
	v_fmac_f32_e32 v4, 0xbf737871, v35
	scratch_store_b32 off, v12, off offset:524 ; 4-byte Folded Spill
	v_add_f32_e32 v6, v6, v51
	v_fmac_f32_e32 v4, 0xbf167918, v37
	ds_store_2addr_b64 v12, v[6:7], v[13:14] offset1:10
	v_sub_f32_e32 v6, v45, v43
	v_sub_f32_e32 v7, v48, v51
	v_dual_add_f32 v13, v43, v51 :: v_dual_sub_f32 v14, v46, v50
	v_fmac_f32_e32 v4, 0x3e9e377a, v47
	s_delay_alu instid0(VALU_DEP_3) | instskip(SKIP_1) | instid1(VALU_DEP_4)
	v_add_f32_e32 v7, v6, v7
	v_add_f32_e32 v6, v42, v50
	v_fma_f32 v0, -0.5, v13, v0
	v_sub_f32_e32 v13, v44, v42
	s_delay_alu instid0(VALU_DEP_3) | instskip(NEXT) | instid1(VALU_DEP_3)
	v_fma_f32 v1, -0.5, v6, v1
	v_fmamk_f32 v6, v37, 0xbf737871, v0
	s_delay_alu instid0(VALU_DEP_3) | instskip(NEXT) | instid1(VALU_DEP_2)
	v_dual_fmac_f32 v0, 0x3f737871, v37 :: v_dual_add_f32 v13, v13, v14
	v_fmac_f32_e32 v6, 0x3f167918, v35
	s_delay_alu instid0(VALU_DEP_2) | instskip(NEXT) | instid1(VALU_DEP_2)
	v_fmac_f32_e32 v0, 0xbf167918, v35
	v_fmac_f32_e32 v6, 0x3e9e377a, v7
	s_delay_alu instid0(VALU_DEP_2) | instskip(SKIP_2) | instid1(VALU_DEP_1)
	v_fmac_f32_e32 v0, 0x3e9e377a, v7
	v_fmamk_f32 v7, v38, 0x3f737871, v1
	v_fmac_f32_e32 v1, 0xbf737871, v38
	v_fmac_f32_e32 v1, 0x3f167918, v36
	s_delay_alu instid0(VALU_DEP_1) | instskip(NEXT) | instid1(VALU_DEP_4)
	v_fmac_f32_e32 v1, 0x3e9e377a, v13
	v_fmac_f32_e32 v7, 0xbf167918, v36
	s_delay_alu instid0(VALU_DEP_1) | instskip(SKIP_4) | instid1(VALU_DEP_2)
	v_fmac_f32_e32 v7, 0x3e9e377a, v13
	v_sub_f32_e32 v13, v11, v26
	ds_store_2addr_b64 v12, v[6:7], v[0:1] offset0:20 offset1:30
	v_dual_add_f32 v0, v18, v25 :: v_dual_add_f32 v1, v16, v40
	v_dual_add_f32 v6, v2, v16 :: v_dual_sub_f32 v7, v17, v19
	v_fma_f32 v0, -0.5, v0, v2
	s_delay_alu instid0(VALU_DEP_3)
	v_fma_f32 v2, -0.5, v1, v2
	v_sub_f32_e32 v1, v18, v16
	v_mul_f32_e32 v37, v60, v207
	v_mul_f32_e32 v42, v64, v197
	;; [unrolled: 1-line block ×3, first 2 shown]
	ds_store_b64 v12, v[4:5] offset:320
	v_sub_f32_e32 v4, v25, v40
	v_fmac_f32_e32 v37, v61, v206
	v_mul_f32_e32 v39, v62, v203
	v_dual_fmac_f32 v35, v59, v200 :: v_dual_mul_f32 v46, v68, v199
	s_delay_alu instid0(VALU_DEP_4) | instskip(SKIP_2) | instid1(VALU_DEP_3)
	v_dual_add_f32 v5, v1, v4 :: v_dual_fmamk_f32 v4, v7, 0xbf737871, v2
	v_fmac_f32_e32 v2, 0x3f737871, v7
	v_add_f32_e32 v1, v17, v19
	v_dual_fmac_f32 v39, v63, v202 :: v_dual_fmac_f32 v4, 0x3f167918, v13
	s_delay_alu instid0(VALU_DEP_3) | instskip(NEXT) | instid1(VALU_DEP_3)
	v_fmac_f32_e32 v2, 0xbf167918, v13
	v_fma_f32 v1, -0.5, v1, v3
	v_add_f32_e32 v14, v3, v11
	v_lshlrev_b32_e32 v12, 3, v27
	v_fmac_f32_e32 v4, 0x3e9e377a, v5
	v_dual_fmac_f32 v2, 0x3e9e377a, v5 :: v_dual_add_f32 v5, v11, v26
	s_delay_alu instid0(VALU_DEP_1) | instskip(SKIP_1) | instid1(VALU_DEP_1)
	v_fmac_f32_e32 v3, -0.5, v5
	v_sub_f32_e32 v5, v17, v11
	v_add_f32_e32 v31, v5, v31
	s_delay_alu instid0(VALU_DEP_3) | instskip(SKIP_1) | instid1(VALU_DEP_2)
	v_fmamk_f32 v5, v32, 0x3f737871, v3
	v_fmac_f32_e32 v3, 0xbf737871, v32
	v_fmac_f32_e32 v5, 0xbf167918, v33
	s_delay_alu instid0(VALU_DEP_2) | instskip(NEXT) | instid1(VALU_DEP_2)
	v_fmac_f32_e32 v3, 0x3f167918, v33
	v_fmac_f32_e32 v5, 0x3e9e377a, v31
	s_delay_alu instid0(VALU_DEP_2)
	v_fmac_f32_e32 v3, 0x3e9e377a, v31
	v_mul_f32_e32 v31, v56, v205
	ds_store_2addr_b64 v12, v[4:5], v[2:3] offset0:20 offset1:30
	v_sub_f32_e32 v5, v11, v17
	v_sub_f32_e32 v11, v26, v19
	v_dual_mul_f32 v44, v66, v193 :: v_dual_fmac_f32 v31, v57, v204
	s_delay_alu instid0(VALU_DEP_2)
	v_add_f32_e32 v11, v5, v11
	v_fmamk_f32 v5, v33, 0xbf737871, v1
	v_add_f32_e32 v3, v14, v17
	v_mul_f32_e32 v2, v57, v205
	v_fmac_f32_e32 v1, 0x3f737871, v33
	scratch_store_b32 off, v12, off offset:528 ; 4-byte Folded Spill
	v_fmac_f32_e32 v5, 0xbf167918, v32
	v_add_f32_e32 v3, v3, v19
	v_fma_f32 v27, v56, v204, -v2
	v_dual_mul_f32 v2, v59, v201 :: v_dual_fmac_f32 v1, 0x3f167918, v32
	s_delay_alu instid0(VALU_DEP_4) | instskip(NEXT) | instid1(VALU_DEP_4)
	v_fmac_f32_e32 v5, 0x3e9e377a, v11
	v_dual_add_f32 v3, v3, v26 :: v_dual_fmac_f32 v42, v65, v196
	s_delay_alu instid0(VALU_DEP_3) | instskip(NEXT) | instid1(VALU_DEP_4)
	v_fma_f32 v34, v58, v200, -v2
	v_fmac_f32_e32 v1, 0x3e9e377a, v11
	v_mul_f32_e32 v2, v61, v207
	v_mad_u16 v11, v20, 50, v23
	v_dual_mul_f32 v23, v83, v187 :: v_dual_mul_f32 v26, v85, v181
	v_mul_f32_e32 v32, v89, v183
	s_delay_alu instid0(VALU_DEP_4) | instskip(SKIP_4) | instid1(VALU_DEP_4)
	v_fma_f32 v36, v60, v206, -v2
	v_mul_f32_e32 v2, v63, v203
	v_and_b32_e32 v11, 0xffff, v11
	v_dual_fmac_f32 v23, v84, v186 :: v_dual_fmac_f32 v26, v86, v180
	v_mul_f32_e32 v20, v81, v191
	v_fma_f32 v38, v62, v202, -v2
	v_mul_f32_e32 v2, v65, v197
	v_fmac_f32_e32 v32, v90, v182
	s_delay_alu instid0(VALU_DEP_2) | instskip(SKIP_1) | instid1(VALU_DEP_2)
	v_fma_f32 v41, v64, v196, -v2
	v_mul_f32_e32 v2, v67, v193
	v_dual_sub_f32 v14, v37, v42 :: v_dual_sub_f32 v17, v36, v41
	s_delay_alu instid0(VALU_DEP_2) | instskip(SKIP_2) | instid1(VALU_DEP_2)
	v_fma_f32 v43, v66, v192, -v2
	v_mul_f32_e32 v2, v69, v199
	v_sub_f32_e32 v4, v16, v18
	v_fma_f32 v45, v68, v198, -v2
	v_mul_f32_e32 v2, v71, v195
	v_fmac_f32_e32 v44, v67, v192
	s_delay_alu instid0(VALU_DEP_3) | instskip(NEXT) | instid1(VALU_DEP_3)
	v_sub_f32_e32 v16, v27, v45
	v_fma_f32 v47, v70, v194, -v2
	v_add_f32_e32 v2, v6, v18
	v_sub_f32_e32 v6, v40, v25
	s_delay_alu instid0(VALU_DEP_2) | instskip(NEXT) | instid1(VALU_DEP_2)
	v_add_f32_e32 v2, v2, v25
	v_add_f32_e32 v6, v4, v6
	v_fmamk_f32 v4, v13, 0x3f737871, v0
	s_delay_alu instid0(VALU_DEP_3) | instskip(NEXT) | instid1(VALU_DEP_2)
	v_add_f32_e32 v2, v2, v40
	v_fmac_f32_e32 v4, 0x3f167918, v7
	s_delay_alu instid0(VALU_DEP_1) | instskip(SKIP_4) | instid1(VALU_DEP_2)
	v_fmac_f32_e32 v4, 0x3e9e377a, v6
	ds_store_2addr_b64 v12, v[2:3], v[4:5] offset1:10
	v_sub_f32_e32 v4, v31, v37
	v_fmac_f32_e32 v46, v69, v198
	v_dual_fmac_f32 v0, 0xbf737871, v13 :: v_dual_add_f32 v3, v53, v31
	v_dual_add_f32 v2, v52, v27 :: v_dual_sub_f32 v5, v46, v42
	s_delay_alu instid0(VALU_DEP_2) | instskip(NEXT) | instid1(VALU_DEP_2)
	v_dual_fmac_f32 v0, 0xbf167918, v7 :: v_dual_add_f32 v3, v3, v37
	v_dual_mul_f32 v48, v70, v195 :: v_dual_add_f32 v7, v4, v5
	s_delay_alu instid0(VALU_DEP_2) | instskip(NEXT) | instid1(VALU_DEP_3)
	v_fmac_f32_e32 v0, 0x3e9e377a, v6
	v_add_f32_e32 v3, v3, v42
	v_sub_f32_e32 v13, v31, v46
	ds_store_b64 v12, v[0:1] offset:320
	v_dual_sub_f32 v0, v27, v36 :: v_dual_sub_f32 v1, v45, v41
	v_lshlrev_b32_e32 v12, 3, v11
	v_sub_f32_e32 v11, v37, v31
	s_delay_alu instid0(VALU_DEP_3) | instskip(SKIP_1) | instid1(VALU_DEP_1)
	v_dual_add_f32 v3, v3, v46 :: v_dual_add_f32 v6, v0, v1
	v_dual_add_f32 v1, v37, v42 :: v_dual_add_f32 v0, v36, v41
	v_fma_f32 v1, -0.5, v1, v53
	v_fmac_f32_e32 v48, v71, v194
	s_delay_alu instid0(VALU_DEP_3) | instskip(NEXT) | instid1(VALU_DEP_3)
	v_fma_f32 v0, -0.5, v0, v52
	v_dual_fmamk_f32 v5, v16, 0xbf737871, v1 :: v_dual_sub_f32 v18, v42, v46
	s_delay_alu instid0(VALU_DEP_2) | instskip(SKIP_1) | instid1(VALU_DEP_3)
	v_dual_fmamk_f32 v4, v13, 0x3f737871, v0 :: v_dual_fmac_f32 v1, 0x3f737871, v16
	v_fmac_f32_e32 v0, 0xbf737871, v13
	v_fmac_f32_e32 v5, 0xbf167918, v17
	s_delay_alu instid0(VALU_DEP_4) | instskip(NEXT) | instid1(VALU_DEP_4)
	v_dual_add_f32 v11, v11, v18 :: v_dual_add_f32 v2, v2, v36
	v_dual_fmac_f32 v4, 0x3f167918, v14 :: v_dual_fmac_f32 v1, 0x3f167918, v17
	s_delay_alu instid0(VALU_DEP_3) | instskip(NEXT) | instid1(VALU_DEP_3)
	v_dual_fmac_f32 v5, 0x3e9e377a, v7 :: v_dual_mul_f32 v18, v78, v185
	v_add_f32_e32 v2, v2, v41
	s_delay_alu instid0(VALU_DEP_3) | instskip(NEXT) | instid1(VALU_DEP_2)
	v_dual_fmac_f32 v4, 0x3e9e377a, v6 :: v_dual_fmac_f32 v1, 0x3e9e377a, v7
	v_dual_sub_f32 v7, v35, v48 :: v_dual_add_f32 v2, v2, v45
	ds_store_2addr_b64 v12, v[2:3], v[4:5] offset1:10
	v_dual_sub_f32 v2, v36, v27 :: v_dual_sub_f32 v3, v41, v45
	s_delay_alu instid0(VALU_DEP_1) | instskip(NEXT) | instid1(VALU_DEP_1)
	v_dual_add_f32 v4, v27, v45 :: v_dual_add_f32 v5, v2, v3
	v_fma_f32 v2, -0.5, v4, v52
	s_delay_alu instid0(VALU_DEP_1) | instskip(SKIP_1) | instid1(VALU_DEP_2)
	v_dual_add_f32 v3, v31, v46 :: v_dual_fmamk_f32 v4, v14, 0xbf737871, v2
	v_fmac_f32_e32 v2, 0x3f737871, v14
	v_fma_f32 v3, -0.5, v3, v53
	s_delay_alu instid0(VALU_DEP_3) | instskip(NEXT) | instid1(VALU_DEP_3)
	v_fmac_f32_e32 v4, 0x3f167918, v13
	v_fmac_f32_e32 v2, 0xbf167918, v13
	v_mad_u16 v13, v21, 50, v28
	v_mul_f32_e32 v28, v87, v177
	s_delay_alu instid0(VALU_DEP_4) | instskip(NEXT) | instid1(VALU_DEP_4)
	v_fmac_f32_e32 v4, 0x3e9e377a, v5
	v_fmac_f32_e32 v2, 0x3e9e377a, v5
	v_fmamk_f32 v5, v17, 0x3f737871, v3
	v_fmac_f32_e32 v3, 0xbf737871, v17
	s_delay_alu instid0(VALU_DEP_2) | instskip(NEXT) | instid1(VALU_DEP_2)
	v_fmac_f32_e32 v5, 0xbf167918, v16
	v_dual_fmac_f32 v3, 0x3f167918, v16 :: v_dual_sub_f32 v16, v34, v47
	v_fmac_f32_e32 v0, 0xbf167918, v14
	v_sub_f32_e32 v14, v38, v43
	s_delay_alu instid0(VALU_DEP_4) | instskip(NEXT) | instid1(VALU_DEP_4)
	v_fmac_f32_e32 v5, 0x3e9e377a, v11
	v_fmac_f32_e32 v3, 0x3e9e377a, v11
	s_delay_alu instid0(VALU_DEP_4)
	v_dual_sub_f32 v11, v44, v48 :: v_dual_fmac_f32 v0, 0x3e9e377a, v6
	v_sub_f32_e32 v6, v39, v44
	ds_store_2addr_b64 v12, v[4:5], v[2:3] offset0:20 offset1:30
	v_add_f32_e32 v4, v54, v34
	ds_store_b64 v12, v[0:1] offset:320
	v_add_f32_e32 v0, v38, v43
	v_add_f32_e32 v1, v34, v47
	v_sub_f32_e32 v2, v43, v47
	v_add_f32_e32 v5, v55, v35
	s_delay_alu instid0(VALU_DEP_4) | instskip(NEXT) | instid1(VALU_DEP_4)
	v_fma_f32 v0, -0.5, v0, v54
	v_fma_f32 v54, -0.5, v1, v54
	v_sub_f32_e32 v1, v38, v34
	s_delay_alu instid0(VALU_DEP_1)
	v_dual_add_f32 v3, v1, v2 :: v_dual_fmamk_f32 v2, v6, 0xbf737871, v54
	v_dual_fmac_f32 v54, 0x3f737871, v6 :: v_dual_add_f32 v1, v39, v44
	scratch_store_b32 off, v12, off offset:532 ; 4-byte Folded Spill
	v_fmac_f32_e32 v2, 0x3f167918, v7
	v_fmac_f32_e32 v54, 0xbf167918, v7
	v_fma_f32 v1, -0.5, v1, v55
	s_delay_alu instid0(VALU_DEP_3) | instskip(NEXT) | instid1(VALU_DEP_3)
	v_fmac_f32_e32 v2, 0x3e9e377a, v3
	v_dual_fmac_f32 v54, 0x3e9e377a, v3 :: v_dual_add_f32 v3, v35, v48
	s_delay_alu instid0(VALU_DEP_1) | instskip(SKIP_1) | instid1(VALU_DEP_1)
	v_fmac_f32_e32 v55, -0.5, v3
	v_sub_f32_e32 v3, v39, v35
	v_add_f32_e32 v11, v3, v11
	s_delay_alu instid0(VALU_DEP_3) | instskip(SKIP_1) | instid1(VALU_DEP_2)
	v_fmamk_f32 v3, v14, 0x3f737871, v55
	v_fmac_f32_e32 v55, 0xbf737871, v14
	v_fmac_f32_e32 v3, 0xbf167918, v16
	s_delay_alu instid0(VALU_DEP_2) | instskip(NEXT) | instid1(VALU_DEP_2)
	v_fmac_f32_e32 v55, 0x3f167918, v16
	v_fmac_f32_e32 v3, 0x3e9e377a, v11
	s_delay_alu instid0(VALU_DEP_2) | instskip(SKIP_1) | instid1(VALU_DEP_1)
	v_fmac_f32_e32 v55, 0x3e9e377a, v11
	v_and_b32_e32 v11, 0xffff, v13
	v_dual_mul_f32 v13, v76, v189 :: v_dual_lshlrev_b32 v12, 3, v11
	s_delay_alu instid0(VALU_DEP_1)
	v_fmac_f32_e32 v13, v77, v188
	ds_store_2addr_b64 v12, v[2:3], v[54:55] offset0:20 offset1:30
	v_mul_f32_e32 v2, v77, v189
	v_add_f32_e32 v3, v5, v39
	v_sub_f32_e32 v5, v35, v39
	v_sub_f32_e32 v35, v48, v44
	s_delay_alu instid0(VALU_DEP_4) | instskip(SKIP_2) | instid1(VALU_DEP_4)
	v_fma_f32 v11, v76, v188, -v2
	v_mul_f32_e32 v2, v79, v185
	v_add_f32_e32 v3, v3, v44
	v_add_f32_e32 v35, v5, v35
	v_fmamk_f32 v5, v16, 0xbf737871, v1
	s_delay_alu instid0(VALU_DEP_4) | instskip(NEXT) | instid1(VALU_DEP_4)
	v_fma_f32 v17, v78, v184, -v2
	v_add_f32_e32 v3, v3, v48
	s_delay_alu instid0(VALU_DEP_3)
	v_fmac_f32_e32 v5, 0xbf167918, v14
	v_dual_fmac_f32 v1, 0x3f737871, v16 :: v_dual_mul_f32 v2, v82, v191
	v_fmac_f32_e32 v18, v79, v184
	scratch_store_b32 off, v12, off offset:540 ; 4-byte Folded Spill
	v_fmac_f32_e32 v5, 0x3e9e377a, v35
	v_fmac_f32_e32 v1, 0x3f167918, v14
	v_fma_f32 v19, v81, v190, -v2
	v_mul_f32_e32 v2, v84, v187
	v_fmac_f32_e32 v20, v82, v190
	v_mad_u16 v14, v22, 50, v29
	v_fmac_f32_e32 v1, 0x3e9e377a, v35
	v_mul_f32_e32 v36, v91, v179
	v_fma_f32 v21, v83, v186, -v2
	v_mul_f32_e32 v2, v86, v181
	s_delay_alu instid0(VALU_DEP_1) | instskip(SKIP_1) | instid1(VALU_DEP_1)
	v_fma_f32 v25, v85, v180, -v2
	v_mul_f32_e32 v2, v88, v177
	v_fma_f32 v27, v87, v176, -v2
	v_mul_f32_e32 v2, v90, v183
	s_delay_alu instid0(VALU_DEP_1) | instskip(SKIP_1) | instid1(VALU_DEP_2)
	v_fma_f32 v31, v89, v182, -v2
	v_mul_f32_e32 v2, v92, v179
	v_sub_f32_e32 v29, v11, v31
	s_delay_alu instid0(VALU_DEP_2) | instskip(SKIP_4) | instid1(VALU_DEP_2)
	v_fma_f32 v33, v91, v178, -v2
	v_add_f32_e32 v2, v4, v38
	v_sub_f32_e32 v4, v34, v38
	v_sub_f32_e32 v34, v47, v43
	v_and_b32_e32 v14, 0xffff, v14
	v_add_f32_e32 v34, v4, v34
	v_fmamk_f32 v4, v7, 0x3f737871, v0
	v_fmac_f32_e32 v0, 0xbf737871, v7
	s_delay_alu instid0(VALU_DEP_2) | instskip(NEXT) | instid1(VALU_DEP_2)
	v_fmac_f32_e32 v4, 0x3f167918, v6
	v_fmac_f32_e32 v0, 0xbf167918, v6
	s_delay_alu instid0(VALU_DEP_2) | instskip(NEXT) | instid1(VALU_DEP_2)
	v_fmac_f32_e32 v4, 0x3e9e377a, v34
	v_fmac_f32_e32 v0, 0x3e9e377a, v34
	v_sub_f32_e32 v34, v19, v25
	v_add_f32_e32 v2, v2, v43
	ds_store_b64 v12, v[0:1] offset:320
	v_sub_f32_e32 v0, v11, v19
	v_dual_add_f32 v2, v2, v47 :: v_dual_sub_f32 v1, v31, v25
	ds_store_2addr_b64 v12, v[2:3], v[4:5] offset1:10
	v_dual_sub_f32 v4, v13, v20 :: v_dual_sub_f32 v5, v32, v26
	v_fmac_f32_e32 v28, v88, v176
	v_add_f32_e32 v6, v0, v1
	v_dual_add_f32 v2, v72, v11 :: v_dual_add_f32 v3, v73, v13
	s_delay_alu instid0(VALU_DEP_4) | instskip(SKIP_2) | instid1(VALU_DEP_4)
	v_add_f32_e32 v7, v4, v5
	v_add_f32_e32 v1, v20, v26
	v_sub_f32_e32 v22, v20, v26
	v_dual_add_f32 v2, v2, v19 :: v_dual_add_f32 v3, v3, v20
	v_lshlrev_b32_e32 v12, 3, v14
	s_delay_alu instid0(VALU_DEP_4) | instskip(SKIP_1) | instid1(VALU_DEP_4)
	v_fma_f32 v1, -0.5, v1, v73
	v_sub_f32_e32 v14, v21, v27
	v_dual_add_f32 v2, v2, v25 :: v_dual_add_f32 v3, v3, v26
	s_delay_alu instid0(VALU_DEP_3) | instskip(NEXT) | instid1(VALU_DEP_2)
	v_fmamk_f32 v5, v29, 0xbf737871, v1
	v_dual_fmac_f32 v1, 0x3f737871, v29 :: v_dual_add_f32 v2, v2, v31
	s_delay_alu instid0(VALU_DEP_2) | instskip(NEXT) | instid1(VALU_DEP_2)
	v_fmac_f32_e32 v5, 0xbf167918, v34
	v_dual_fmac_f32 v1, 0x3f167918, v34 :: v_dual_add_f32 v0, v19, v25
	s_delay_alu instid0(VALU_DEP_2) | instskip(NEXT) | instid1(VALU_DEP_2)
	v_fmac_f32_e32 v5, 0x3e9e377a, v7
	v_fmac_f32_e32 v1, 0x3e9e377a, v7
	s_delay_alu instid0(VALU_DEP_3) | instskip(SKIP_1) | instid1(VALU_DEP_1)
	v_fma_f32 v0, -0.5, v0, v72
	v_sub_f32_e32 v16, v13, v32
	v_dual_add_f32 v3, v3, v32 :: v_dual_fmamk_f32 v4, v16, 0x3f737871, v0
	v_fmac_f32_e32 v0, 0xbf737871, v16
	s_delay_alu instid0(VALU_DEP_2) | instskip(NEXT) | instid1(VALU_DEP_1)
	v_fmac_f32_e32 v4, 0x3f167918, v22
	v_fmac_f32_e32 v4, 0x3e9e377a, v6
	ds_store_2addr_b64 v12, v[2:3], v[4:5] offset1:10
	v_sub_f32_e32 v2, v19, v11
	v_sub_f32_e32 v3, v25, v31
	v_dual_add_f32 v4, v11, v31 :: v_dual_sub_f32 v11, v20, v13
	v_fmac_f32_e32 v36, v92, v178
	s_delay_alu instid0(VALU_DEP_3) | instskip(NEXT) | instid1(VALU_DEP_3)
	v_dual_fmac_f32 v0, 0xbf167918, v22 :: v_dual_add_f32 v5, v2, v3
	v_fma_f32 v2, -0.5, v4, v72
	v_add_f32_e32 v3, v13, v32
	s_delay_alu instid0(VALU_DEP_3) | instskip(SKIP_1) | instid1(VALU_DEP_4)
	v_dual_sub_f32 v13, v26, v32 :: v_dual_fmac_f32 v0, 0x3e9e377a, v6
	v_sub_f32_e32 v7, v18, v36
	v_fmamk_f32 v4, v22, 0xbf737871, v2
	v_fmac_f32_e32 v2, 0x3f737871, v22
	v_fma_f32 v3, -0.5, v3, v73
	v_add_f32_e32 v11, v11, v13
	v_mad_u16 v13, v15, 50, v30
	v_dual_sub_f32 v15, v17, v33 :: v_dual_fmac_f32 v4, 0x3f167918, v16
	v_fmac_f32_e32 v2, 0xbf167918, v16
	ds_store_b64 v12, v[0:1] offset:320
	v_add_f32_e32 v0, v21, v27
	v_add_f32_e32 v1, v17, v33
	v_fmac_f32_e32 v4, 0x3e9e377a, v5
	v_fmac_f32_e32 v2, 0x3e9e377a, v5
	v_fmamk_f32 v5, v34, 0x3f737871, v3
	v_fmac_f32_e32 v3, 0xbf737871, v34
	v_fma_f32 v0, -0.5, v0, v74
	s_delay_alu instid0(VALU_DEP_3) | instskip(NEXT) | instid1(VALU_DEP_3)
	v_fmac_f32_e32 v5, 0xbf167918, v29
	v_fmac_f32_e32 v3, 0x3f167918, v29
	s_delay_alu instid0(VALU_DEP_2) | instskip(NEXT) | instid1(VALU_DEP_2)
	v_fmac_f32_e32 v5, 0x3e9e377a, v11
	v_fmac_f32_e32 v3, 0x3e9e377a, v11
	v_sub_f32_e32 v11, v28, v36
	ds_store_2addr_b64 v12, v[4:5], v[2:3] offset0:20 offset1:30
	v_add_f32_e32 v4, v74, v17
	v_fma_f32 v74, -0.5, v1, v74
	v_dual_add_f32 v1, v23, v28 :: v_dual_sub_f32 v2, v21, v17
	v_sub_f32_e32 v3, v27, v33
	v_add_f32_e32 v5, v75, v18
	s_delay_alu instid0(VALU_DEP_3) | instskip(NEXT) | instid1(VALU_DEP_3)
	v_fma_f32 v1, -0.5, v1, v75
	v_dual_sub_f32 v6, v23, v28 :: v_dual_add_f32 v3, v2, v3
	s_delay_alu instid0(VALU_DEP_1) | instskip(SKIP_1) | instid1(VALU_DEP_2)
	v_fmamk_f32 v2, v6, 0xbf737871, v74
	v_fmac_f32_e32 v74, 0x3f737871, v6
	v_fmac_f32_e32 v2, 0x3f167918, v7
	s_delay_alu instid0(VALU_DEP_2) | instskip(NEXT) | instid1(VALU_DEP_2)
	v_fmac_f32_e32 v74, 0xbf167918, v7
	v_fmac_f32_e32 v2, 0x3e9e377a, v3
	s_delay_alu instid0(VALU_DEP_2) | instskip(NEXT) | instid1(VALU_DEP_1)
	v_dual_fmac_f32 v74, 0x3e9e377a, v3 :: v_dual_add_f32 v3, v18, v36
	v_fmac_f32_e32 v75, -0.5, v3
	v_sub_f32_e32 v3, v23, v18
	s_delay_alu instid0(VALU_DEP_1) | instskip(NEXT) | instid1(VALU_DEP_3)
	v_add_f32_e32 v11, v3, v11
	v_fmamk_f32 v3, v14, 0x3f737871, v75
	v_fmac_f32_e32 v75, 0xbf737871, v14
	s_delay_alu instid0(VALU_DEP_2) | instskip(NEXT) | instid1(VALU_DEP_2)
	v_fmac_f32_e32 v3, 0xbf167918, v15
	v_fmac_f32_e32 v75, 0x3f167918, v15
	scratch_store_b32 off, v12, off offset:544 ; 4-byte Folded Spill
	v_fmac_f32_e32 v3, 0x3e9e377a, v11
	v_fmac_f32_e32 v75, 0x3e9e377a, v11
	v_and_b32_e32 v11, 0xffff, v13
	v_sub_f32_e32 v13, v36, v28
	s_delay_alu instid0(VALU_DEP_2)
	v_lshlrev_b32_e32 v11, 3, v11
	ds_store_2addr_b64 v11, v[2:3], v[74:75] offset0:20 offset1:30
	v_add_f32_e32 v2, v4, v21
	v_sub_f32_e32 v4, v17, v21
	v_add_f32_e32 v3, v5, v23
	v_sub_f32_e32 v5, v33, v27
	s_delay_alu instid0(VALU_DEP_2) | instskip(NEXT) | instid1(VALU_DEP_2)
	v_dual_add_f32 v2, v2, v27 :: v_dual_add_f32 v3, v3, v28
	v_dual_add_f32 v16, v4, v5 :: v_dual_fmamk_f32 v5, v15, 0xbf737871, v1
	v_dual_fmac_f32 v1, 0x3f737871, v15 :: v_dual_fmamk_f32 v4, v7, 0x3f737871, v0
	v_fmac_f32_e32 v0, 0xbf737871, v7
	s_delay_alu instid0(VALU_DEP_3) | instskip(NEXT) | instid1(VALU_DEP_3)
	v_dual_add_f32 v2, v2, v33 :: v_dual_fmac_f32 v5, 0xbf167918, v14
	v_dual_fmac_f32 v1, 0x3f167918, v14 :: v_dual_mov_b32 v12, v11
	s_delay_alu instid0(VALU_DEP_3) | instskip(SKIP_1) | instid1(VALU_DEP_2)
	v_dual_sub_f32 v11, v18, v23 :: v_dual_fmac_f32 v0, 0xbf167918, v6
	v_dual_fmac_f32 v4, 0x3f167918, v6 :: v_dual_add_f32 v3, v3, v36
	v_dual_add_f32 v11, v11, v13 :: v_dual_fmac_f32 v0, 0x3e9e377a, v16
	s_delay_alu instid0(VALU_DEP_1)
	v_dual_fmac_f32 v4, 0x3e9e377a, v16 :: v_dual_fmac_f32 v1, 0x3e9e377a, v11
	v_fmac_f32_e32 v5, 0x3e9e377a, v11
	scratch_store_b32 off, v12, off offset:536 ; 4-byte Folded Spill
	ds_store_b64 v12, v[0:1] offset:320
	v_lshrrev_b16 v0, 1, v24
	v_mul_lo_u16 v1, v10, 41
	ds_store_2addr_b64 v12, v[2:3], v[4:5] offset1:10
	global_wb scope:SCOPE_SE
	s_wait_storecnt_dscnt 0x0
	s_barrier_signal -1
	v_and_b32_e32 v0, 0xffff, v0
	v_lshrrev_b16 v4, 11, v1
	s_barrier_wait -1
	global_inv scope:SCOPE_SE
	v_mul_u32_u24_e32 v0, 0x147b, v0
	s_delay_alu instid0(VALU_DEP_1) | instskip(NEXT) | instid1(VALU_DEP_1)
	v_lshrrev_b32_e32 v19, 17, v0
	v_mul_lo_u16 v0, v19, 50
	s_delay_alu instid0(VALU_DEP_1) | instskip(SKIP_1) | instid1(VALU_DEP_2)
	v_sub_nc_u16 v20, v24, v0
	v_mul_lo_u16 v0, v4, 50
	v_lshlrev_b16 v1, 4, v20
	s_delay_alu instid0(VALU_DEP_2) | instskip(NEXT) | instid1(VALU_DEP_2)
	v_sub_nc_u16 v0, v104, v0
	v_and_b32_e32 v1, 0xffff, v1
	s_delay_alu instid0(VALU_DEP_2) | instskip(NEXT) | instid1(VALU_DEP_2)
	v_and_b32_e32 v5, 0xff, v0
	v_add_co_u32 v0, s2, s10, v1
	s_wait_alu 0xf1ff
	v_add_co_ci_u32_e64 v1, null, s11, 0, s2
	s_delay_alu instid0(VALU_DEP_3)
	v_lshlrev_b32_e32 v2, 4, v5
	s_clause 0x1
	global_load_b128 v[136:139], v[0:1], off offset:320
	global_load_b128 v[140:143], v2, s[10:11] offset:320
	ds_load_2addr_b64 v[0:3], v130 offset0:70 offset1:205
	s_wait_loadcnt_dscnt 0x100
	v_mul_f32_e32 v22, v2, v137
	s_wait_loadcnt 0x0
	v_mul_f32_e32 v6, v1, v141
	s_delay_alu instid0(VALU_DEP_2) | instskip(NEXT) | instid1(VALU_DEP_2)
	v_dual_mul_f32 v7, v0, v141 :: v_dual_fmac_f32 v22, v3, v136
	v_fma_f32 v6, v0, v140, -v6
	s_delay_alu instid0(VALU_DEP_2) | instskip(NEXT) | instid1(VALU_DEP_1)
	v_dual_mul_f32 v0, v3, v137 :: v_dual_fmac_f32 v7, v1, v140
	v_fma_f32 v21, v2, v136, -v0
	ds_load_2addr_b64 v[0:3], v95 offset0:12 offset1:147
	s_wait_dscnt 0x0
	v_mul_f32_e32 v10, v1, v143
	v_mul_f32_e32 v14, v0, v143
	;; [unrolled: 1-line block ×3, first 2 shown]
	s_delay_alu instid0(VALU_DEP_3) | instskip(SKIP_1) | instid1(VALU_DEP_4)
	v_fma_f32 v13, v0, v142, -v10
	v_mul_f32_e32 v0, v3, v139
	v_fmac_f32_e32 v14, v1, v142
	s_delay_alu instid0(VALU_DEP_3) | instskip(NEXT) | instid1(VALU_DEP_3)
	v_dual_fmac_f32 v25, v3, v138 :: v_dual_sub_f32 v92, v6, v13
	v_fma_f32 v23, v2, v138, -v0
	v_lshrrev_b16 v0, 1, v8
	s_delay_alu instid0(VALU_DEP_1) | instskip(SKIP_1) | instid1(VALU_DEP_1)
	v_and_b32_e32 v26, 0xffff, v0
	v_lshrrev_b16 v0, 1, v105
	v_and_b32_e32 v27, 0xffff, v0
	s_delay_alu instid0(VALU_DEP_3) | instskip(NEXT) | instid1(VALU_DEP_1)
	v_mul_u32_u24_e32 v0, 0x147b, v26
	v_lshrrev_b32_e32 v28, 17, v0
	s_delay_alu instid0(VALU_DEP_3) | instskip(NEXT) | instid1(VALU_DEP_1)
	v_mul_u32_u24_e32 v0, 0x147b, v27
	v_lshrrev_b32_e32 v29, 17, v0
	s_delay_alu instid0(VALU_DEP_3) | instskip(NEXT) | instid1(VALU_DEP_1)
	v_mul_lo_u16 v0, v28, 50
	v_sub_nc_u16 v30, v8, v0
	s_delay_alu instid0(VALU_DEP_3) | instskip(NEXT) | instid1(VALU_DEP_1)
	v_mul_lo_u16 v0, v29, 50
	v_sub_nc_u16 v31, v105, v0
	s_delay_alu instid0(VALU_DEP_3) | instskip(NEXT) | instid1(VALU_DEP_2)
	v_lshlrev_b16 v0, 4, v30
	v_lshlrev_b16 v1, 4, v31
	s_delay_alu instid0(VALU_DEP_2) | instskip(NEXT) | instid1(VALU_DEP_2)
	v_and_b32_e32 v0, 0xffff, v0
	v_and_b32_e32 v2, 0xffff, v1
	s_delay_alu instid0(VALU_DEP_2) | instskip(SKIP_2) | instid1(VALU_DEP_3)
	v_add_co_u32 v0, s2, s10, v0
	s_wait_alu 0xf1ff
	v_add_co_ci_u32_e64 v1, null, s11, 0, s2
	v_add_co_u32 v2, s2, s10, v2
	s_wait_alu 0xf1ff
	v_add_co_ci_u32_e64 v3, null, s11, 0, s2
	s_clause 0x1
	global_load_b128 v[148:151], v[0:1], off offset:320
	global_load_b128 v[144:147], v[2:3], off offset:320
	ds_load_2addr_b64 v[0:3], v152 offset0:84 offset1:219
	s_wait_loadcnt_dscnt 0x100
	v_mul_f32_e32 v10, v1, v149
	v_mul_f32_e32 v33, v0, v149
	s_wait_loadcnt 0x0
	v_mul_f32_e32 v35, v2, v145
	s_delay_alu instid0(VALU_DEP_3) | instskip(NEXT) | instid1(VALU_DEP_3)
	v_fma_f32 v32, v0, v148, -v10
	v_dual_mul_f32 v0, v3, v145 :: v_dual_fmac_f32 v33, v1, v148
	s_delay_alu instid0(VALU_DEP_3) | instskip(NEXT) | instid1(VALU_DEP_2)
	v_fmac_f32_e32 v35, v3, v144
	v_fma_f32 v34, v2, v144, -v0
	ds_load_2addr_b64 v[0:3], v243 offset0:26 offset1:161
	s_wait_dscnt 0x0
	v_mul_f32_e32 v10, v1, v151
	v_mul_f32_e32 v37, v0, v151
	;; [unrolled: 1-line block ×3, first 2 shown]
	s_delay_alu instid0(VALU_DEP_3) | instskip(NEXT) | instid1(VALU_DEP_3)
	v_fma_f32 v36, v0, v150, -v10
	v_dual_mul_f32 v0, v3, v147 :: v_dual_fmac_f32 v37, v1, v150
	s_delay_alu instid0(VALU_DEP_3) | instskip(NEXT) | instid1(VALU_DEP_2)
	v_fmac_f32_e32 v39, v3, v146
	v_fma_f32 v38, v2, v146, -v0
	v_lshrrev_b16 v0, 1, v113
	s_delay_alu instid0(VALU_DEP_1) | instskip(SKIP_1) | instid1(VALU_DEP_1)
	v_and_b32_e32 v48, 0xffff, v0
	v_lshrrev_b16 v0, 1, v112
	v_and_b32_e32 v49, 0xffff, v0
	s_delay_alu instid0(VALU_DEP_3) | instskip(NEXT) | instid1(VALU_DEP_1)
	v_mul_u32_u24_e32 v0, 0x147b, v48
	v_lshrrev_b32_e32 v50, 17, v0
	s_delay_alu instid0(VALU_DEP_3) | instskip(NEXT) | instid1(VALU_DEP_1)
	v_mul_u32_u24_e32 v0, 0x147b, v49
	v_lshrrev_b32_e32 v51, 17, v0
	s_delay_alu instid0(VALU_DEP_3) | instskip(NEXT) | instid1(VALU_DEP_1)
	v_mul_lo_u16 v0, v50, 50
	v_sub_nc_u16 v52, v113, v0
	s_delay_alu instid0(VALU_DEP_3) | instskip(NEXT) | instid1(VALU_DEP_1)
	v_mul_lo_u16 v0, v51, 50
	v_sub_nc_u16 v53, v112, v0
	s_delay_alu instid0(VALU_DEP_3) | instskip(NEXT) | instid1(VALU_DEP_2)
	v_lshlrev_b16 v0, 4, v52
	v_lshlrev_b16 v1, 4, v53
	s_delay_alu instid0(VALU_DEP_2) | instskip(NEXT) | instid1(VALU_DEP_2)
	v_and_b32_e32 v0, 0xffff, v0
	v_and_b32_e32 v2, 0xffff, v1
	s_delay_alu instid0(VALU_DEP_2) | instskip(SKIP_2) | instid1(VALU_DEP_3)
	v_add_co_u32 v0, s2, s10, v0
	s_wait_alu 0xf1ff
	v_add_co_ci_u32_e64 v1, null, s11, 0, s2
	v_add_co_u32 v2, s2, s10, v2
	s_wait_alu 0xf1ff
	v_add_co_ci_u32_e64 v3, null, s11, 0, s2
	s_clause 0x1
	global_load_b128 v[156:159], v[0:1], off offset:320
	global_load_b128 v[152:155], v[2:3], off offset:320
	ds_load_2addr_b64 v[0:3], v132 offset0:98 offset1:233
	s_wait_loadcnt_dscnt 0x100
	v_mul_f32_e32 v10, v1, v157
	v_mul_f32_e32 v55, v0, v157
	s_wait_loadcnt 0x0
	v_mul_f32_e32 v57, v2, v153
	s_delay_alu instid0(VALU_DEP_3) | instskip(NEXT) | instid1(VALU_DEP_3)
	v_fma_f32 v54, v0, v156, -v10
	v_dual_mul_f32 v0, v3, v153 :: v_dual_fmac_f32 v55, v1, v156
	s_delay_alu instid0(VALU_DEP_3) | instskip(NEXT) | instid1(VALU_DEP_2)
	v_fmac_f32_e32 v57, v3, v152
	v_fma_f32 v56, v2, v152, -v0
	ds_load_2addr_b64 v[0:3], v209 offset0:40 offset1:175
	s_wait_dscnt 0x0
	v_mul_f32_e32 v10, v1, v159
	v_mul_f32_e32 v59, v0, v159
	;; [unrolled: 1-line block ×3, first 2 shown]
	s_delay_alu instid0(VALU_DEP_3) | instskip(NEXT) | instid1(VALU_DEP_3)
	v_fma_f32 v58, v0, v158, -v10
	v_dual_mul_f32 v0, v3, v155 :: v_dual_fmac_f32 v59, v1, v158
	s_delay_alu instid0(VALU_DEP_3) | instskip(NEXT) | instid1(VALU_DEP_2)
	v_dual_fmac_f32 v61, v3, v154 :: v_dual_and_b32 v4, 0xffff, v4
	v_fma_f32 v60, v2, v154, -v0
	v_lshrrev_b16 v0, 1, v114
	s_delay_alu instid0(VALU_DEP_3) | instskip(NEXT) | instid1(VALU_DEP_2)
	v_mul_u32_u24_e32 v4, 0x96, v4
	v_and_b32_e32 v72, 0xffff, v0
	v_lshrrev_b16 v0, 1, v115
	s_delay_alu instid0(VALU_DEP_3) | instskip(NEXT) | instid1(VALU_DEP_2)
	v_add_lshl_u32 v12, v4, v5, 3
	v_and_b32_e32 v73, 0xffff, v0
	s_delay_alu instid0(VALU_DEP_4) | instskip(NEXT) | instid1(VALU_DEP_1)
	v_mul_u32_u24_e32 v0, 0x147b, v72
	v_lshrrev_b32_e32 v62, 17, v0
	s_delay_alu instid0(VALU_DEP_3) | instskip(NEXT) | instid1(VALU_DEP_1)
	v_mul_u32_u24_e32 v0, 0x147b, v73
	v_lshrrev_b32_e32 v63, 17, v0
	s_delay_alu instid0(VALU_DEP_3) | instskip(NEXT) | instid1(VALU_DEP_1)
	v_mul_lo_u16 v0, v62, 50
	v_sub_nc_u16 v64, v114, v0
	s_delay_alu instid0(VALU_DEP_3) | instskip(NEXT) | instid1(VALU_DEP_1)
	v_mul_lo_u16 v0, v63, 50
	v_sub_nc_u16 v65, v115, v0
	s_delay_alu instid0(VALU_DEP_3) | instskip(NEXT) | instid1(VALU_DEP_2)
	v_lshlrev_b16 v0, 4, v64
	v_lshlrev_b16 v1, 4, v65
	s_delay_alu instid0(VALU_DEP_2) | instskip(NEXT) | instid1(VALU_DEP_2)
	v_and_b32_e32 v0, 0xffff, v0
	v_and_b32_e32 v2, 0xffff, v1
	s_delay_alu instid0(VALU_DEP_2) | instskip(SKIP_2) | instid1(VALU_DEP_3)
	v_add_co_u32 v0, s2, s10, v0
	s_wait_alu 0xf1ff
	v_add_co_ci_u32_e64 v1, null, s11, 0, s2
	v_add_co_u32 v2, s2, s10, v2
	s_wait_alu 0xf1ff
	v_add_co_ci_u32_e64 v3, null, s11, 0, s2
	s_clause 0x1
	global_load_b128 v[164:167], v[0:1], off offset:320
	global_load_b128 v[160:163], v[2:3], off offset:320
	ds_load_2addr_b64 v[0:3], v131 offset0:112 offset1:247
	s_wait_loadcnt_dscnt 0x100
	v_mul_f32_e32 v10, v1, v165
	v_mul_f32_e32 v67, v0, v165
	s_wait_loadcnt 0x0
	v_mul_f32_e32 v69, v2, v161
	v_sub_f32_e32 v91, v7, v14
	v_fma_f32 v66, v0, v164, -v10
	v_dual_mul_f32 v0, v3, v161 :: v_dual_fmac_f32 v67, v1, v164
	s_delay_alu instid0(VALU_DEP_4) | instskip(NEXT) | instid1(VALU_DEP_2)
	v_fmac_f32_e32 v69, v3, v160
	v_fma_f32 v68, v2, v160, -v0
	ds_load_2addr_b64 v[0:3], v236 offset0:54 offset1:189
	s_wait_dscnt 0x0
	v_mul_f32_e32 v10, v1, v167
	v_mul_f32_e32 v71, v0, v167
	;; [unrolled: 1-line block ×3, first 2 shown]
	s_delay_alu instid0(VALU_DEP_3) | instskip(NEXT) | instid1(VALU_DEP_3)
	v_fma_f32 v70, v0, v166, -v10
	v_dual_mul_f32 v0, v3, v163 :: v_dual_fmac_f32 v71, v1, v166
	s_delay_alu instid0(VALU_DEP_3) | instskip(NEXT) | instid1(VALU_DEP_2)
	v_fmac_f32_e32 v75, v3, v162
	v_fma_f32 v74, v2, v162, -v0
	v_lshrrev_b16 v0, 1, v116
	s_delay_alu instid0(VALU_DEP_1) | instskip(SKIP_1) | instid1(VALU_DEP_1)
	v_and_b32_e32 v76, 0xffff, v0
	v_lshrrev_b16 v0, 1, v117
	v_and_b32_e32 v77, 0xffff, v0
	s_delay_alu instid0(VALU_DEP_3) | instskip(NEXT) | instid1(VALU_DEP_1)
	v_mul_u32_u24_e32 v0, 0x147b, v76
	v_lshrrev_b32_e32 v78, 17, v0
	s_delay_alu instid0(VALU_DEP_3) | instskip(NEXT) | instid1(VALU_DEP_1)
	v_mul_u32_u24_e32 v0, 0x147b, v77
	v_lshrrev_b32_e32 v79, 17, v0
	s_delay_alu instid0(VALU_DEP_3) | instskip(NEXT) | instid1(VALU_DEP_1)
	v_mul_lo_u16 v0, v78, 50
	v_sub_nc_u16 v81, v116, v0
	s_delay_alu instid0(VALU_DEP_3) | instskip(NEXT) | instid1(VALU_DEP_1)
	v_mul_lo_u16 v0, v79, 50
	v_sub_nc_u16 v82, v117, v0
	s_delay_alu instid0(VALU_DEP_3) | instskip(NEXT) | instid1(VALU_DEP_2)
	v_lshlrev_b16 v0, 4, v81
	v_lshlrev_b16 v1, 4, v82
	s_delay_alu instid0(VALU_DEP_2) | instskip(NEXT) | instid1(VALU_DEP_2)
	v_and_b32_e32 v0, 0xffff, v0
	v_and_b32_e32 v2, 0xffff, v1
	s_delay_alu instid0(VALU_DEP_2) | instskip(SKIP_2) | instid1(VALU_DEP_3)
	v_add_co_u32 v0, s2, s10, v0
	s_wait_alu 0xf1ff
	v_add_co_ci_u32_e64 v1, null, s11, 0, s2
	v_add_co_u32 v2, s2, s10, v2
	s_wait_alu 0xf1ff
	v_add_co_ci_u32_e64 v3, null, s11, 0, s2
	s_clause 0x1
	global_load_b128 v[172:175], v[0:1], off offset:320
	global_load_b128 v[168:171], v[2:3], off offset:320
	ds_load_2addr_b64 v[0:3], v210 offset0:62 offset1:197
	scratch_store_b32 off, v12, off offset:520 ; 4-byte Folded Spill
	s_wait_loadcnt_dscnt 0x100
	v_mul_f32_e32 v10, v1, v173
	v_mul_f32_e32 v84, v0, v173
	s_wait_loadcnt 0x0
	v_mul_f32_e32 v86, v2, v169
	s_delay_alu instid0(VALU_DEP_3) | instskip(SKIP_2) | instid1(VALU_DEP_4)
	v_fma_f32 v83, v0, v172, -v10
	v_mul_f32_e32 v0, v3, v169
	v_fmac_f32_e32 v84, v1, v172
	v_fmac_f32_e32 v86, v3, v168
	s_delay_alu instid0(VALU_DEP_3)
	v_fma_f32 v85, v2, v168, -v0
	ds_load_2addr_b64 v[0:3], v134 offset0:68 offset1:203
	s_wait_dscnt 0x0
	v_mul_f32_e32 v10, v1, v175
	v_mul_f32_e32 v88, v0, v175
	v_mul_f32_e32 v90, v2, v171
	s_delay_alu instid0(VALU_DEP_3) | instskip(SKIP_1) | instid1(VALU_DEP_4)
	v_fma_f32 v87, v0, v174, -v10
	v_mul_f32_e32 v0, v3, v171
	v_fmac_f32_e32 v88, v1, v174
	s_delay_alu instid0(VALU_DEP_4) | instskip(NEXT) | instid1(VALU_DEP_3)
	v_fmac_f32_e32 v90, v3, v170
	v_fma_f32 v89, v2, v170, -v0
	ds_load_2addr_b64 v[0:3], v93 offset1:135
	s_wait_dscnt 0x0
	v_add_f32_e32 v11, v1, v7
	v_add_f32_e32 v7, v7, v14
	;; [unrolled: 1-line block ×3, first 2 shown]
	s_delay_alu instid0(VALU_DEP_3) | instskip(NEXT) | instid1(VALU_DEP_3)
	v_dual_add_f32 v11, v11, v14 :: v_dual_add_f32 v14, v6, v13
	v_fma_f32 v1, -0.5, v7, v1
	s_delay_alu instid0(VALU_DEP_3) | instskip(NEXT) | instid1(VALU_DEP_3)
	v_add_f32_e32 v10, v10, v13
	v_fma_f32 v0, -0.5, v14, v0
	s_delay_alu instid0(VALU_DEP_3)
	v_fmamk_f32 v18, v92, 0xbf5db3d7, v1
	v_fmac_f32_e32 v1, 0x3f5db3d7, v92
	ds_load_2addr_b64 v[4:7], v135 offset0:14 offset1:149
	ds_load_2addr_b64 v[13:16], v133 offset0:28 offset1:163
	;; [unrolled: 1-line block ×4, first 2 shown]
	global_wb scope:SCOPE_SE
	s_wait_storecnt_dscnt 0x0
	v_fmamk_f32 v17, v91, 0x3f5db3d7, v0
	v_fmac_f32_e32 v0, 0xbf5db3d7, v91
	s_barrier_signal -1
	s_barrier_wait -1
	global_inv scope:SCOPE_SE
	ds_store_2addr_b64 v12, v[10:11], v[17:18] offset1:50
	ds_store_b64 v12, v[0:1] offset:800
	v_dual_add_f32 v0, v21, v23 :: v_dual_add_f32 v1, v2, v21
	v_dual_add_f32 v10, v3, v22 :: v_dual_add_f32 v11, v22, v25
	v_sub_f32_e32 v17, v22, v25
	s_delay_alu instid0(VALU_DEP_3) | instskip(NEXT) | instid1(VALU_DEP_3)
	v_fma_f32 v2, -0.5, v0, v2
	v_dual_add_f32 v0, v1, v23 :: v_dual_add_f32 v1, v10, v25
	v_mad_u16 v10, 0x96, v19, v20
	v_fmac_f32_e32 v3, -0.5, v11
	v_sub_f32_e32 v18, v21, v23
	s_delay_alu instid0(VALU_DEP_3) | instskip(SKIP_1) | instid1(VALU_DEP_3)
	v_dual_mov_b32 v92, v128 :: v_dual_and_b32 v19, 0xffff, v10
	v_fmamk_f32 v10, v17, 0x3f5db3d7, v2
	v_dual_fmamk_f32 v11, v18, 0xbf5db3d7, v3 :: v_dual_fmac_f32 v2, 0xbf5db3d7, v17
	s_delay_alu instid0(VALU_DEP_3)
	v_dual_fmac_f32 v3, 0x3f5db3d7, v18 :: v_dual_lshlrev_b32 v12, 3, v19
	v_sub_f32_e32 v17, v32, v36
	ds_store_2addr_b64 v12, v[0:1], v[10:11] offset1:50
	ds_store_b64 v12, v[2:3] offset:800
	v_add_f32_e32 v3, v33, v37
	v_mad_u16 v11, 0x96, v28, v30
	v_add_f32_e32 v2, v32, v36
	v_dual_add_f32 v0, v4, v32 :: v_dual_add_f32 v1, v5, v33
	v_sub_f32_e32 v10, v33, v37
	v_fma_f32 v3, -0.5, v3, v5
	s_delay_alu instid0(VALU_DEP_4) | instskip(NEXT) | instid1(VALU_DEP_4)
	v_fma_f32 v2, -0.5, v2, v4
	v_dual_add_f32 v0, v0, v36 :: v_dual_and_b32 v11, 0xffff, v11
	v_add_f32_e32 v1, v1, v37
	s_delay_alu instid0(VALU_DEP_4) | instskip(SKIP_1) | instid1(VALU_DEP_4)
	v_fmamk_f32 v5, v17, 0xbf5db3d7, v3
	v_fmac_f32_e32 v3, 0x3f5db3d7, v17
	v_dual_fmamk_f32 v4, v10, 0x3f5db3d7, v2 :: v_dual_lshlrev_b32 v11, 3, v11
	v_fmac_f32_e32 v2, 0xbf5db3d7, v10
	ds_store_2addr_b64 v11, v[0:1], v[4:5] offset1:50
	ds_store_b64 v11, v[2:3] offset:800
	v_add_f32_e32 v0, v34, v38
	v_dual_add_f32 v1, v6, v34 :: v_dual_add_f32 v2, v7, v35
	v_add_f32_e32 v3, v35, v39
	v_sub_f32_e32 v4, v35, v39
	s_delay_alu instid0(VALU_DEP_4) | instskip(SKIP_1) | instid1(VALU_DEP_4)
	v_fma_f32 v6, -0.5, v0, v6
	v_sub_f32_e32 v5, v34, v38
	v_dual_fmac_f32 v7, -0.5, v3 :: v_dual_add_f32 v0, v1, v38
	v_add_f32_e32 v1, v2, v39
	v_mad_u16 v2, 0x96, v29, v31
	s_delay_alu instid0(VALU_DEP_3) | instskip(SKIP_1) | instid1(VALU_DEP_3)
	v_fmamk_f32 v3, v5, 0xbf5db3d7, v7
	v_fmac_f32_e32 v7, 0x3f5db3d7, v5
	v_and_b32_e32 v10, 0xffff, v2
	v_fmamk_f32 v2, v4, 0x3f5db3d7, v6
	s_delay_alu instid0(VALU_DEP_2)
	v_lshlrev_b32_e32 v10, 3, v10
	ds_store_2addr_b64 v10, v[0:1], v[2:3] offset1:50
	v_dual_add_f32 v1, v14, v55 :: v_dual_fmac_f32 v6, 0xbf5db3d7, v4
	v_add_f32_e32 v3, v55, v59
	v_mad_u16 v4, 0x96, v50, v52
	v_add_f32_e32 v2, v54, v58
	scratch_store_b32 off, v10, off offset:508 ; 4-byte Folded Spill
	ds_store_b64 v10, v[6:7] offset:800
	v_add_f32_e32 v0, v13, v54
	v_sub_f32_e32 v6, v55, v59
	v_fma_f32 v2, -0.5, v2, v13
	v_fma_f32 v3, -0.5, v3, v14
	v_dual_sub_f32 v7, v54, v58 :: v_dual_and_b32 v10, 0xffff, v4
	v_dual_add_f32 v0, v0, v58 :: v_dual_add_f32 v1, v1, v59
	s_delay_alu instid0(VALU_DEP_4) | instskip(NEXT) | instid1(VALU_DEP_3)
	v_fmamk_f32 v4, v6, 0x3f5db3d7, v2
	v_dual_fmamk_f32 v5, v7, 0xbf5db3d7, v3 :: v_dual_lshlrev_b32 v10, 3, v10
	v_fmac_f32_e32 v2, 0xbf5db3d7, v6
	v_fmac_f32_e32 v3, 0x3f5db3d7, v7
	v_sub_f32_e32 v7, v66, v70
	ds_store_2addr_b64 v10, v[0:1], v[4:5] offset1:50
	v_add_f32_e32 v0, v56, v60
	ds_store_b64 v10, v[2:3] offset:800
	v_mad_u16 v3, 0x96, v51, v53
	v_add_f32_e32 v4, v57, v61
	v_add_f32_e32 v2, v15, v56
	v_fma_f32 v15, -0.5, v0, v15
	v_add_f32_e32 v0, v16, v57
	s_delay_alu instid0(VALU_DEP_4) | instskip(SKIP_1) | instid1(VALU_DEP_3)
	v_dual_sub_f32 v5, v57, v61 :: v_dual_fmac_f32 v16, -0.5, v4
	v_sub_f32_e32 v4, v56, v60
	v_dual_add_f32 v1, v0, v61 :: v_dual_and_b32 v6, 0xffff, v3
	v_add_f32_e32 v0, v2, v60
	s_delay_alu instid0(VALU_DEP_4) | instskip(NEXT) | instid1(VALU_DEP_3)
	v_fmamk_f32 v2, v5, 0x3f5db3d7, v15
	v_dual_fmamk_f32 v3, v4, 0xbf5db3d7, v16 :: v_dual_lshlrev_b32 v6, 3, v6
	v_fmac_f32_e32 v15, 0xbf5db3d7, v5
	v_fmac_f32_e32 v16, 0x3f5db3d7, v4
	v_mad_u16 v4, 0x96, v62, v64
	s_clause 0x1
	scratch_store_b32 off, v10, off offset:504
	scratch_store_b32 off, v6, off offset:500
	ds_store_2addr_b64 v6, v[0:1], v[2:3] offset1:50
	v_dual_add_f32 v3, v67, v71 :: v_dual_add_f32 v2, v66, v70
	ds_store_b64 v6, v[15:16] offset:800
	v_dual_add_f32 v0, v40, v66 :: v_dual_add_f32 v1, v41, v67
	v_sub_f32_e32 v6, v67, v71
	v_fma_f32 v2, -0.5, v2, v40
	v_fma_f32 v3, -0.5, v3, v41
	v_and_b32_e32 v10, 0xffff, v4
	v_dual_add_f32 v0, v0, v70 :: v_dual_add_f32 v1, v1, v71
	s_delay_alu instid0(VALU_DEP_4) | instskip(NEXT) | instid1(VALU_DEP_3)
	v_fmamk_f32 v4, v6, 0x3f5db3d7, v2
	v_dual_fmamk_f32 v5, v7, 0xbf5db3d7, v3 :: v_dual_lshlrev_b32 v10, 3, v10
	v_fmac_f32_e32 v2, 0xbf5db3d7, v6
	v_fmac_f32_e32 v3, 0x3f5db3d7, v7
	v_sub_f32_e32 v7, v83, v87
	ds_store_2addr_b64 v10, v[0:1], v[4:5] offset1:50
	v_add_f32_e32 v0, v68, v74
	ds_store_b64 v10, v[2:3] offset:800
	v_mad_u16 v3, 0x96, v63, v65
	v_add_f32_e32 v4, v69, v75
	v_add_f32_e32 v2, v42, v68
	v_fma_f32 v42, -0.5, v0, v42
	v_dual_add_f32 v0, v43, v69 :: v_dual_sub_f32 v5, v69, v75
	s_delay_alu instid0(VALU_DEP_4) | instskip(SKIP_1) | instid1(VALU_DEP_3)
	v_dual_fmac_f32 v43, -0.5, v4 :: v_dual_sub_f32 v4, v68, v74
	v_and_b32_e32 v6, 0xffff, v3
	v_dual_add_f32 v1, v0, v75 :: v_dual_add_f32 v0, v2, v74
	s_delay_alu instid0(VALU_DEP_4) | instskip(NEXT) | instid1(VALU_DEP_3)
	v_fmamk_f32 v2, v5, 0x3f5db3d7, v42
	v_dual_fmamk_f32 v3, v4, 0xbf5db3d7, v43 :: v_dual_lshlrev_b32 v6, 3, v6
	v_fmac_f32_e32 v42, 0xbf5db3d7, v5
	v_fmac_f32_e32 v43, 0x3f5db3d7, v4
	v_mad_u16 v4, 0x96, v78, v81
	s_clause 0x2
	scratch_store_b32 off, v12, off offset:516
	scratch_store_b32 off, v10, off offset:460
	;; [unrolled: 1-line block ×3, first 2 shown]
	ds_store_2addr_b64 v6, v[0:1], v[2:3] offset1:50
	v_dual_add_f32 v3, v84, v88 :: v_dual_add_f32 v2, v83, v87
	ds_store_b64 v6, v[42:43] offset:800
	v_dual_add_f32 v0, v44, v83 :: v_dual_add_f32 v1, v45, v84
	v_sub_f32_e32 v6, v84, v88
	v_fma_f32 v2, -0.5, v2, v44
	v_fma_f32 v3, -0.5, v3, v45
	v_and_b32_e32 v10, 0xffff, v4
	v_dual_add_f32 v0, v0, v87 :: v_dual_add_f32 v1, v1, v88
	s_delay_alu instid0(VALU_DEP_4) | instskip(NEXT) | instid1(VALU_DEP_3)
	v_fmamk_f32 v4, v6, 0x3f5db3d7, v2
	v_dual_fmamk_f32 v5, v7, 0xbf5db3d7, v3 :: v_dual_lshlrev_b32 v10, 3, v10
	v_fmac_f32_e32 v2, 0xbf5db3d7, v6
	v_dual_fmac_f32 v3, 0x3f5db3d7, v7 :: v_dual_mov_b32 v12, v130
	ds_store_2addr_b64 v10, v[0:1], v[4:5] offset1:50
	v_add_f32_e32 v0, v85, v89
	ds_store_b64 v10, v[2:3] offset:800
	v_mad_u16 v3, 0x96, v79, v82
	v_add_f32_e32 v4, v86, v90
	v_add_f32_e32 v2, v46, v85
	v_fma_f32 v46, -0.5, v0, v46
	v_add_f32_e32 v0, v47, v86
	v_sub_f32_e32 v5, v86, v90
	v_dual_fmac_f32 v47, -0.5, v4 :: v_dual_sub_f32 v4, v85, v89
	s_delay_alu instid0(VALU_DEP_3) | instskip(SKIP_1) | instid1(VALU_DEP_4)
	v_dual_add_f32 v1, v0, v90 :: v_dual_and_b32 v6, 0xffff, v3
	v_add_f32_e32 v0, v2, v89
	v_fmamk_f32 v2, v5, 0x3f5db3d7, v46
	s_delay_alu instid0(VALU_DEP_3)
	v_dual_fmamk_f32 v3, v4, 0xbf5db3d7, v47 :: v_dual_lshlrev_b32 v6, 3, v6
	v_fmac_f32_e32 v46, 0xbf5db3d7, v5
	v_fmac_f32_e32 v47, 0x3f5db3d7, v4
	s_clause 0x2
	scratch_store_b32 off, v11, off offset:512
	scratch_store_b32 off, v10, off offset:452
	;; [unrolled: 1-line block ×3, first 2 shown]
	ds_store_2addr_b64 v6, v[0:1], v[2:3] offset1:50
	v_add_co_u32 v0, s2, v128, -15
	s_wait_alu 0xf1ff
	v_add_co_ci_u32_e64 v1, null, 0, -1, s2
	v_lshlrev_b32_e32 v10, 4, v128
	s_delay_alu instid0(VALU_DEP_3)
	v_cndmask_b32_e32 v17, v0, v24, vcc_lo
	ds_store_b64 v6, v[46:47] offset:800
	v_cndmask_b32_e32 v18, v1, v80, vcc_lo
	global_wb scope:SCOPE_SE
	s_wait_storecnt_dscnt 0x0
	s_barrier_signal -1
	s_barrier_wait -1
	global_inv scope:SCOPE_SE
	v_lshlrev_b64_e32 v[0:1], 4, v[17:18]
	scratch_store_b32 off, v92, off offset:252 ; 4-byte Folded Spill
	v_add_co_u32 v0, vcc_lo, s10, v0
	s_wait_alu 0xfffd
	v_add_co_ci_u32_e32 v1, vcc_lo, s11, v1, vcc_lo
	s_clause 0x1
	global_load_b128 v[60:63], v[0:1], off offset:1120
	global_load_b128 v[56:59], v10, s[10:11] offset:1120
	ds_load_2addr_b64 v[0:3], v130 offset0:70 offset1:205
	v_cmp_lt_u16_e32 vcc_lo, 14, v104
	s_wait_loadcnt_dscnt 0x100
	v_mul_f32_e32 v22, v2, v61
	s_wait_loadcnt 0x0
	v_mul_f32_e32 v4, v1, v57
	s_delay_alu instid0(VALU_DEP_2) | instskip(NEXT) | instid1(VALU_DEP_2)
	v_dual_mul_f32 v5, v0, v57 :: v_dual_fmac_f32 v22, v3, v60
	v_fma_f32 v4, v0, v56, -v4
	s_delay_alu instid0(VALU_DEP_2) | instskip(NEXT) | instid1(VALU_DEP_1)
	v_dual_mul_f32 v0, v3, v61 :: v_dual_fmac_f32 v5, v1, v56
	v_fma_f32 v11, v2, v60, -v0
	ds_load_2addr_b64 v[0:3], v95 offset0:12 offset1:147
	s_wait_dscnt 0x0
	v_mul_f32_e32 v6, v1, v59
	v_mul_f32_e32 v7, v0, v59
	;; [unrolled: 1-line block ×3, first 2 shown]
	s_delay_alu instid0(VALU_DEP_3) | instskip(NEXT) | instid1(VALU_DEP_3)
	v_fma_f32 v6, v0, v58, -v6
	v_dual_mul_f32 v0, v3, v63 :: v_dual_fmac_f32 v7, v1, v58
	v_mul_u32_u24_e32 v1, 0xda75, v27
	s_delay_alu instid0(VALU_DEP_4) | instskip(NEXT) | instid1(VALU_DEP_3)
	v_fmac_f32_e32 v25, v3, v62
	v_fma_f32 v23, v2, v62, -v0
	v_mul_u32_u24_e32 v0, 0xda75, v26
	s_delay_alu instid0(VALU_DEP_4) | instskip(SKIP_1) | instid1(VALU_DEP_3)
	v_lshrrev_b32_e32 v27, 22, v1
	v_sub_f32_e32 v129, v5, v7
	v_lshrrev_b32_e32 v26, 22, v0
	s_delay_alu instid0(VALU_DEP_1) | instskip(NEXT) | instid1(VALU_DEP_1)
	v_mul_lo_u16 v0, 0x96, v26
	v_sub_nc_u16 v28, v8, v0
	v_mul_lo_u16 v0, 0x96, v27
	s_delay_alu instid0(VALU_DEP_1) | instskip(NEXT) | instid1(VALU_DEP_3)
	v_sub_nc_u16 v29, v105, v0
	v_lshlrev_b16 v0, 4, v28
	s_delay_alu instid0(VALU_DEP_2) | instskip(NEXT) | instid1(VALU_DEP_2)
	v_lshlrev_b16 v1, 4, v29
	v_and_b32_e32 v0, 0xffff, v0
	s_delay_alu instid0(VALU_DEP_2) | instskip(NEXT) | instid1(VALU_DEP_2)
	v_and_b32_e32 v2, 0xffff, v1
	v_add_co_u32 v0, s2, s10, v0
	s_wait_alu 0xf1ff
	v_add_co_ci_u32_e64 v1, null, s11, 0, s2
	s_delay_alu instid0(VALU_DEP_3)
	v_add_co_u32 v2, s2, s10, v2
	s_wait_alu 0xf1ff
	v_add_co_ci_u32_e64 v3, null, s11, 0, s2
	s_clause 0x1
	global_load_b128 v[80:83], v[0:1], off offset:1120
	global_load_b128 v[64:67], v[2:3], off offset:1120
	ds_load_2addr_b64 v[0:3], v94 offset0:84 offset1:219
	s_wait_loadcnt_dscnt 0x100
	v_mul_f32_e32 v13, v1, v81
	v_mul_f32_e32 v31, v0, v81
	s_wait_loadcnt 0x0
	v_mul_f32_e32 v33, v2, v65
	s_delay_alu instid0(VALU_DEP_3) | instskip(NEXT) | instid1(VALU_DEP_3)
	v_fma_f32 v30, v0, v80, -v13
	v_dual_mul_f32 v0, v3, v65 :: v_dual_fmac_f32 v31, v1, v80
	s_delay_alu instid0(VALU_DEP_3) | instskip(NEXT) | instid1(VALU_DEP_2)
	v_fmac_f32_e32 v33, v3, v64
	v_fma_f32 v32, v2, v64, -v0
	ds_load_2addr_b64 v[0:3], v243 offset0:26 offset1:161
	s_wait_dscnt 0x0
	v_mul_f32_e32 v13, v1, v83
	v_mul_f32_e32 v37, v2, v67
	v_mul_f32_e32 v35, v0, v83
	s_delay_alu instid0(VALU_DEP_3) | instskip(NEXT) | instid1(VALU_DEP_3)
	v_fma_f32 v34, v0, v82, -v13
	v_fmac_f32_e32 v37, v3, v66
	s_delay_alu instid0(VALU_DEP_3) | instskip(SKIP_1) | instid1(VALU_DEP_2)
	v_dual_mul_f32 v0, v3, v67 :: v_dual_fmac_f32 v35, v1, v82
	v_mul_u32_u24_e32 v1, 0xda75, v49
	v_fma_f32 v36, v2, v66, -v0
	v_mul_u32_u24_e32 v0, 0xda75, v48
	s_delay_alu instid0(VALU_DEP_3) | instskip(NEXT) | instid1(VALU_DEP_2)
	v_lshrrev_b32_e32 v39, 22, v1
	v_lshrrev_b32_e32 v38, 22, v0
	s_delay_alu instid0(VALU_DEP_1) | instskip(NEXT) | instid1(VALU_DEP_1)
	v_mul_lo_u16 v0, 0x96, v38
	v_sub_nc_u16 v48, v113, v0
	s_delay_alu instid0(VALU_DEP_4) | instskip(NEXT) | instid1(VALU_DEP_1)
	v_mul_lo_u16 v0, 0x96, v39
	v_sub_nc_u16 v49, v112, v0
	s_delay_alu instid0(VALU_DEP_3) | instskip(NEXT) | instid1(VALU_DEP_2)
	v_lshlrev_b16 v0, 4, v48
	v_lshlrev_b16 v1, 4, v49
	s_delay_alu instid0(VALU_DEP_2) | instskip(NEXT) | instid1(VALU_DEP_2)
	v_and_b32_e32 v0, 0xffff, v0
	v_and_b32_e32 v2, 0xffff, v1
	s_delay_alu instid0(VALU_DEP_2) | instskip(SKIP_2) | instid1(VALU_DEP_3)
	v_add_co_u32 v0, s2, s10, v0
	s_wait_alu 0xf1ff
	v_add_co_ci_u32_e64 v1, null, s11, 0, s2
	v_add_co_u32 v2, s2, s10, v2
	s_wait_alu 0xf1ff
	v_add_co_ci_u32_e64 v3, null, s11, 0, s2
	s_clause 0x1
	global_load_b128 v[84:87], v[0:1], off offset:1120
	global_load_b128 v[68:71], v[2:3], off offset:1120
	ds_load_2addr_b64 v[0:3], v132 offset0:98 offset1:233
	s_wait_loadcnt_dscnt 0x100
	v_mul_f32_e32 v13, v1, v85
	v_mul_f32_e32 v51, v0, v85
	s_wait_loadcnt 0x0
	v_mul_f32_e32 v53, v2, v69
	s_delay_alu instid0(VALU_DEP_3) | instskip(NEXT) | instid1(VALU_DEP_3)
	v_fma_f32 v50, v0, v84, -v13
	v_dual_mul_f32 v0, v3, v69 :: v_dual_fmac_f32 v51, v1, v84
	s_delay_alu instid0(VALU_DEP_3) | instskip(NEXT) | instid1(VALU_DEP_2)
	v_fmac_f32_e32 v53, v3, v68
	v_fma_f32 v52, v2, v68, -v0
	ds_load_2addr_b64 v[0:3], v209 offset0:40 offset1:175
	s_wait_dscnt 0x0
	v_mul_f32_e32 v13, v1, v87
	v_mul_f32_e32 v55, v0, v87
	;; [unrolled: 1-line block ×3, first 2 shown]
	s_delay_alu instid0(VALU_DEP_3) | instskip(NEXT) | instid1(VALU_DEP_3)
	v_fma_f32 v54, v0, v86, -v13
	v_dual_mul_f32 v0, v3, v71 :: v_dual_fmac_f32 v55, v1, v86
	v_mul_u32_u24_e32 v1, 0xda75, v73
	s_delay_alu instid0(VALU_DEP_4) | instskip(NEXT) | instid1(VALU_DEP_3)
	v_fmac_f32_e32 v97, v3, v70
	v_fma_f32 v96, v2, v70, -v0
	v_mul_u32_u24_e32 v0, 0xda75, v72
	s_delay_alu instid0(VALU_DEP_4) | instskip(NEXT) | instid1(VALU_DEP_2)
	v_lshrrev_b32_e32 v99, 22, v1
	v_lshrrev_b32_e32 v98, 22, v0
	s_delay_alu instid0(VALU_DEP_1) | instskip(NEXT) | instid1(VALU_DEP_1)
	v_mul_lo_u16 v0, 0x96, v98
	v_sub_nc_u16 v100, v114, v0
	s_delay_alu instid0(VALU_DEP_4) | instskip(NEXT) | instid1(VALU_DEP_1)
	v_mul_lo_u16 v0, 0x96, v99
	v_sub_nc_u16 v101, v115, v0
	s_delay_alu instid0(VALU_DEP_3) | instskip(NEXT) | instid1(VALU_DEP_2)
	v_lshlrev_b16 v0, 4, v100
	v_lshlrev_b16 v1, 4, v101
	s_delay_alu instid0(VALU_DEP_2) | instskip(NEXT) | instid1(VALU_DEP_2)
	v_and_b32_e32 v0, 0xffff, v0
	v_and_b32_e32 v2, 0xffff, v1
	s_delay_alu instid0(VALU_DEP_2) | instskip(SKIP_2) | instid1(VALU_DEP_3)
	v_add_co_u32 v0, s2, s10, v0
	s_wait_alu 0xf1ff
	v_add_co_ci_u32_e64 v1, null, s11, 0, s2
	v_add_co_u32 v2, s2, s10, v2
	s_wait_alu 0xf1ff
	v_add_co_ci_u32_e64 v3, null, s11, 0, s2
	s_clause 0x1
	global_load_b128 v[88:91], v[0:1], off offset:1120
	global_load_b128 v[72:75], v[2:3], off offset:1120
	ds_load_2addr_b64 v[0:3], v131 offset0:112 offset1:247
	s_wait_loadcnt_dscnt 0x100
	v_mul_f32_e32 v13, v1, v89
	v_mul_f32_e32 v103, v0, v89
	s_wait_loadcnt 0x0
	v_mul_f32_e32 v107, v2, v73
	s_delay_alu instid0(VALU_DEP_3) | instskip(NEXT) | instid1(VALU_DEP_3)
	v_fma_f32 v102, v0, v88, -v13
	v_dual_mul_f32 v0, v3, v73 :: v_dual_fmac_f32 v103, v1, v88
	s_delay_alu instid0(VALU_DEP_3) | instskip(NEXT) | instid1(VALU_DEP_2)
	v_dual_fmac_f32 v107, v3, v72 :: v_dual_sub_f32 v130, v4, v6
	v_fma_f32 v106, v2, v72, -v0
	ds_load_2addr_b64 v[0:3], v236 offset0:54 offset1:189
	s_wait_dscnt 0x0
	v_mul_f32_e32 v13, v1, v91
	v_mul_f32_e32 v109, v0, v91
	;; [unrolled: 1-line block ×3, first 2 shown]
	s_delay_alu instid0(VALU_DEP_3) | instskip(NEXT) | instid1(VALU_DEP_3)
	v_fma_f32 v108, v0, v90, -v13
	v_dual_mul_f32 v0, v3, v75 :: v_dual_fmac_f32 v109, v1, v90
	v_mul_u32_u24_e32 v1, 0xda75, v76
	s_delay_alu instid0(VALU_DEP_4) | instskip(NEXT) | instid1(VALU_DEP_3)
	v_fmac_f32_e32 v111, v3, v74
	v_fma_f32 v110, v2, v74, -v0
	v_mul_u32_u24_e32 v0, 0xda75, v77
	s_delay_alu instid0(VALU_DEP_4) | instskip(NEXT) | instid1(VALU_DEP_2)
	v_lshrrev_b32_e32 v118, 22, v1
	v_lshrrev_b32_e32 v0, 22, v0
	s_delay_alu instid0(VALU_DEP_2) | instskip(NEXT) | instid1(VALU_DEP_2)
	v_mul_lo_u16 v1, 0x96, v118
	v_mul_lo_u16 v0, 0x96, v0
	s_delay_alu instid0(VALU_DEP_2) | instskip(NEXT) | instid1(VALU_DEP_2)
	v_sub_nc_u16 v119, v116, v1
	v_sub_nc_u16 v120, v117, v0
	s_delay_alu instid0(VALU_DEP_2) | instskip(NEXT) | instid1(VALU_DEP_2)
	v_lshlrev_b16 v0, 4, v119
	v_lshlrev_b16 v1, 4, v120
	s_delay_alu instid0(VALU_DEP_2) | instskip(NEXT) | instid1(VALU_DEP_2)
	v_and_b32_e32 v0, 0xffff, v0
	v_and_b32_e32 v2, 0xffff, v1
	s_delay_alu instid0(VALU_DEP_2) | instskip(SKIP_2) | instid1(VALU_DEP_3)
	v_add_co_u32 v0, s2, s10, v0
	s_wait_alu 0xf1ff
	v_add_co_ci_u32_e64 v1, null, s11, 0, s2
	v_add_co_u32 v2, s2, s10, v2
	s_wait_alu 0xf1ff
	v_add_co_ci_u32_e64 v3, null, s11, 0, s2
	s_clause 0x1
	global_load_b128 v[76:79], v[0:1], off offset:1120
	global_load_b128 v[244:247], v[2:3], off offset:1120
	ds_load_2addr_b64 v[0:3], v210 offset0:62 offset1:197
	s_wait_loadcnt_dscnt 0x100
	v_mul_f32_e32 v13, v1, v77
	v_mul_f32_e32 v122, v0, v77
	s_wait_loadcnt 0x0
	v_mul_f32_e32 v124, v2, v245
	s_delay_alu instid0(VALU_DEP_3) | instskip(SKIP_2) | instid1(VALU_DEP_4)
	v_fma_f32 v121, v0, v76, -v13
	v_mul_f32_e32 v0, v3, v245
	v_fmac_f32_e32 v122, v1, v76
	v_fmac_f32_e32 v124, v3, v244
	s_delay_alu instid0(VALU_DEP_3)
	v_fma_f32 v123, v2, v244, -v0
	ds_load_2addr_b64 v[0:3], v134 offset0:68 offset1:203
	s_wait_dscnt 0x0
	v_mul_f32_e32 v13, v1, v79
	v_mul_f32_e32 v126, v0, v79
	;; [unrolled: 1-line block ×3, first 2 shown]
	s_delay_alu instid0(VALU_DEP_3) | instskip(SKIP_1) | instid1(VALU_DEP_4)
	v_fma_f32 v125, v0, v78, -v13
	v_mul_f32_e32 v0, v3, v247
	v_fmac_f32_e32 v126, v1, v78
	s_delay_alu instid0(VALU_DEP_4) | instskip(NEXT) | instid1(VALU_DEP_3)
	v_fmac_f32_e32 v128, v3, v246
	v_fma_f32 v127, v2, v246, -v0
	ds_load_2addr_b64 v[0:3], v93 offset1:135
	s_wait_dscnt 0x0
	v_add_f32_e32 v14, v1, v5
	v_add_f32_e32 v5, v5, v7
	;; [unrolled: 1-line block ×3, first 2 shown]
	s_delay_alu instid0(VALU_DEP_3) | instskip(SKIP_1) | instid1(VALU_DEP_4)
	v_add_f32_e32 v19, v14, v7
	v_add_f32_e32 v7, v4, v6
	v_fma_f32 v1, -0.5, v5, v1
	s_delay_alu instid0(VALU_DEP_4) | instskip(NEXT) | instid1(VALU_DEP_3)
	v_add_f32_e32 v18, v13, v6
	v_fma_f32 v0, -0.5, v7, v0
	s_delay_alu instid0(VALU_DEP_3)
	v_fmamk_f32 v21, v130, 0xbf5db3d7, v1
	v_fmac_f32_e32 v1, 0x3f5db3d7, v130
	ds_load_2addr_b64 v[4:7], v135 offset0:14 offset1:149
	ds_load_2addr_b64 v[13:16], v133 offset0:28 offset1:163
	;; [unrolled: 1-line block ×4, first 2 shown]
	global_wb scope:SCOPE_SE
	s_wait_storecnt_dscnt 0x0
	v_fmamk_f32 v20, v129, 0x3f5db3d7, v0
	v_fmac_f32_e32 v0, 0xbf5db3d7, v129
	s_barrier_signal -1
	s_barrier_wait -1
	global_inv scope:SCOPE_SE
	ds_store_2addr_b64 v93, v[18:19], v[20:21] offset1:150
	ds_store_b64 v93, v[0:1] offset:2400
	s_wait_alu 0xfffd
	v_cndmask_b32_e64 v0, 0, 0x1c2, vcc_lo
	v_add_f32_e32 v1, v2, v11
	v_sub_f32_e32 v19, v22, v25
	v_cmp_gt_u16_e32 vcc_lo, 45, v104
	s_delay_alu instid0(VALU_DEP_4) | instskip(SKIP_3) | instid1(VALU_DEP_3)
	v_add_lshl_u32 v20, v17, v0, 3
	v_add_f32_e32 v0, v11, v23
	v_add_f32_e32 v17, v3, v22
	v_sub_f32_e32 v11, v11, v23
	v_fma_f32 v2, -0.5, v0, v2
	v_add_f32_e32 v0, v1, v23
	s_delay_alu instid0(VALU_DEP_4) | instskip(SKIP_1) | instid1(VALU_DEP_1)
	v_add_f32_e32 v1, v17, v25
	v_add_f32_e32 v17, v22, v25
	v_fmac_f32_e32 v3, -0.5, v17
	v_fmamk_f32 v17, v19, 0x3f5db3d7, v2
	v_fmac_f32_e32 v2, 0xbf5db3d7, v19
	s_delay_alu instid0(VALU_DEP_3)
	v_fmamk_f32 v18, v11, 0xbf5db3d7, v3
	v_fmac_f32_e32 v3, 0x3f5db3d7, v11
	v_sub_f32_e32 v11, v31, v35
	ds_store_2addr_b64 v20, v[0:1], v[17:18] offset1:150
	ds_store_b64 v20, v[2:3] offset:2400
	v_add_f32_e32 v3, v31, v35
	v_mad_u16 v17, 0x1c2, v26, v28
	v_add_f32_e32 v2, v30, v34
	v_dual_add_f32 v0, v4, v30 :: v_dual_add_f32 v1, v5, v31
	s_delay_alu instid0(VALU_DEP_4) | instskip(SKIP_1) | instid1(VALU_DEP_4)
	v_fma_f32 v3, -0.5, v3, v5
	v_sub_f32_e32 v18, v30, v34
	v_fma_f32 v2, -0.5, v2, v4
	v_dual_mov_b32 v208, v94 :: v_dual_and_b32 v17, 0xffff, v17
	v_dual_add_f32 v0, v0, v34 :: v_dual_add_f32 v1, v1, v35
	s_delay_alu instid0(VALU_DEP_3) | instskip(SKIP_1) | instid1(VALU_DEP_4)
	v_fmamk_f32 v4, v11, 0x3f5db3d7, v2
	v_fmamk_f32 v5, v18, 0xbf5db3d7, v3
	v_dual_fmac_f32 v2, 0xbf5db3d7, v11 :: v_dual_lshlrev_b32 v17, 3, v17
	v_fmac_f32_e32 v3, 0x3f5db3d7, v18
	ds_store_2addr_b64 v17, v[0:1], v[4:5] offset1:150
	v_add_f32_e32 v0, v32, v36
	ds_store_b64 v17, v[2:3] offset:2400
	v_dual_add_f32 v1, v6, v32 :: v_dual_add_f32 v2, v7, v33
	v_add_f32_e32 v3, v33, v37
	v_fma_f32 v6, -0.5, v0, v6
	v_sub_f32_e32 v4, v33, v37
	s_delay_alu instid0(VALU_DEP_4) | instskip(SKIP_3) | instid1(VALU_DEP_3)
	v_dual_add_f32 v0, v1, v36 :: v_dual_add_f32 v1, v2, v37
	v_mad_u16 v2, 0x1c2, v27, v29
	v_fmac_f32_e32 v7, -0.5, v3
	v_sub_f32_e32 v5, v32, v36
	v_and_b32_e32 v11, 0xffff, v2
	v_fmamk_f32 v2, v4, 0x3f5db3d7, v6
	s_delay_alu instid0(VALU_DEP_3) | instskip(SKIP_1) | instid1(VALU_DEP_4)
	v_dual_fmamk_f32 v3, v5, 0xbf5db3d7, v7 :: v_dual_fmac_f32 v6, 0xbf5db3d7, v4
	v_fmac_f32_e32 v7, 0x3f5db3d7, v5
	v_lshlrev_b32_e32 v11, 3, v11
	v_mad_u16 v4, 0x1c2, v38, v48
	ds_store_2addr_b64 v11, v[0:1], v[2:3] offset1:150
	v_dual_add_f32 v3, v51, v55 :: v_dual_add_f32 v2, v50, v54
	scratch_store_b32 off, v11, off offset:292 ; 4-byte Folded Spill
	ds_store_b64 v11, v[6:7] offset:2400
	v_dual_add_f32 v0, v13, v50 :: v_dual_add_f32 v1, v14, v51
	v_sub_f32_e32 v6, v51, v55
	v_fma_f32 v2, -0.5, v2, v13
	v_fma_f32 v3, -0.5, v3, v14
	v_sub_f32_e32 v7, v50, v54
	v_dual_add_f32 v0, v0, v54 :: v_dual_and_b32 v11, 0xffff, v4
	s_delay_alu instid0(VALU_DEP_4) | instskip(NEXT) | instid1(VALU_DEP_3)
	v_dual_add_f32 v1, v1, v55 :: v_dual_fmamk_f32 v4, v6, 0x3f5db3d7, v2
	v_fmamk_f32 v5, v7, 0xbf5db3d7, v3
	s_delay_alu instid0(VALU_DEP_3)
	v_dual_fmac_f32 v2, 0xbf5db3d7, v6 :: v_dual_lshlrev_b32 v11, 3, v11
	v_fmac_f32_e32 v3, 0x3f5db3d7, v7
	v_sub_f32_e32 v7, v102, v108
	ds_store_2addr_b64 v11, v[0:1], v[4:5] offset1:150
	v_add_f32_e32 v0, v52, v96
	ds_store_b64 v11, v[2:3] offset:2400
	v_dual_add_f32 v1, v15, v52 :: v_dual_add_f32 v2, v16, v53
	v_add_f32_e32 v3, v53, v97
	v_fma_f32 v15, -0.5, v0, v15
	v_sub_f32_e32 v4, v53, v97
	s_delay_alu instid0(VALU_DEP_4) | instskip(SKIP_2) | instid1(VALU_DEP_2)
	v_dual_add_f32 v0, v1, v96 :: v_dual_add_f32 v1, v2, v97
	v_mad_u16 v2, 0x1c2, v39, v49
	v_dual_fmac_f32 v16, -0.5, v3 :: v_dual_sub_f32 v5, v52, v96
	v_dual_mov_b32 v39, v133 :: v_dual_and_b32 v6, 0xffff, v2
	v_fmamk_f32 v2, v4, 0x3f5db3d7, v15
	s_delay_alu instid0(VALU_DEP_3)
	v_fmamk_f32 v3, v5, 0xbf5db3d7, v16
	v_fmac_f32_e32 v15, 0xbf5db3d7, v4
	v_fmac_f32_e32 v16, 0x3f5db3d7, v5
	v_lshlrev_b32_e32 v6, 3, v6
	v_mad_u16 v4, 0x1c2, v98, v100
	s_clause 0x1
	scratch_store_b32 off, v11, off offset:288
	scratch_store_b32 off, v6, off offset:284
	ds_store_2addr_b64 v6, v[0:1], v[2:3] offset1:150
	v_dual_add_f32 v3, v103, v109 :: v_dual_add_f32 v2, v102, v108
	ds_store_b64 v6, v[15:16] offset:2400
	v_dual_add_f32 v0, v40, v102 :: v_dual_add_f32 v1, v41, v103
	v_sub_f32_e32 v6, v103, v109
	v_fma_f32 v2, -0.5, v2, v40
	v_fma_f32 v3, -0.5, v3, v41
	v_and_b32_e32 v11, 0xffff, v4
	v_dual_add_f32 v0, v0, v108 :: v_dual_add_f32 v1, v1, v109
	s_delay_alu instid0(VALU_DEP_4) | instskip(NEXT) | instid1(VALU_DEP_4)
	v_fmamk_f32 v4, v6, 0x3f5db3d7, v2
	v_fmamk_f32 v5, v7, 0xbf5db3d7, v3
	s_delay_alu instid0(VALU_DEP_4)
	v_dual_fmac_f32 v2, 0xbf5db3d7, v6 :: v_dual_lshlrev_b32 v11, 3, v11
	v_fmac_f32_e32 v3, 0x3f5db3d7, v7
	v_sub_f32_e32 v7, v121, v125
	ds_store_2addr_b64 v11, v[0:1], v[4:5] offset1:150
	v_add_f32_e32 v0, v106, v110
	ds_store_b64 v11, v[2:3] offset:2400
	v_dual_add_f32 v1, v42, v106 :: v_dual_add_f32 v2, v43, v107
	v_add_f32_e32 v3, v107, v111
	v_fma_f32 v42, -0.5, v0, v42
	v_sub_f32_e32 v4, v107, v111
	s_delay_alu instid0(VALU_DEP_4) | instskip(SKIP_3) | instid1(VALU_DEP_3)
	v_dual_add_f32 v0, v1, v110 :: v_dual_add_f32 v1, v2, v111
	v_mad_u16 v2, 0x1c2, v99, v101
	v_fmac_f32_e32 v43, -0.5, v3
	v_sub_f32_e32 v5, v106, v110
	v_and_b32_e32 v6, 0xffff, v2
	v_fmamk_f32 v2, v4, 0x3f5db3d7, v42
	s_delay_alu instid0(VALU_DEP_3) | instskip(NEXT) | instid1(VALU_DEP_3)
	v_dual_fmamk_f32 v3, v5, 0xbf5db3d7, v43 :: v_dual_fmac_f32 v42, 0xbf5db3d7, v4
	v_dual_fmac_f32 v43, 0x3f5db3d7, v5 :: v_dual_lshlrev_b32 v6, 3, v6
	v_mad_u16 v4, 0x1c2, v118, v119
	s_clause 0x2
	scratch_store_b32 off, v20, off offset:300
	scratch_store_b32 off, v11, off offset:280
	;; [unrolled: 1-line block ×3, first 2 shown]
	ds_store_2addr_b64 v6, v[0:1], v[2:3] offset1:150
	v_dual_add_f32 v3, v122, v126 :: v_dual_add_f32 v2, v121, v125
	ds_store_b64 v6, v[42:43] offset:2400
	v_dual_add_f32 v0, v44, v121 :: v_dual_add_f32 v1, v45, v122
	v_sub_f32_e32 v6, v122, v126
	v_fma_f32 v2, -0.5, v2, v44
	v_fma_f32 v3, -0.5, v3, v45
	s_delay_alu instid0(VALU_DEP_4) | instskip(NEXT) | instid1(VALU_DEP_3)
	v_dual_add_f32 v0, v0, v125 :: v_dual_and_b32 v11, 0xffff, v4
	v_dual_add_f32 v1, v1, v126 :: v_dual_fmamk_f32 v4, v6, 0x3f5db3d7, v2
	s_delay_alu instid0(VALU_DEP_3) | instskip(NEXT) | instid1(VALU_DEP_3)
	v_fmamk_f32 v5, v7, 0xbf5db3d7, v3
	v_dual_fmac_f32 v2, 0xbf5db3d7, v6 :: v_dual_lshlrev_b32 v11, 3, v11
	v_fmac_f32_e32 v3, 0x3f5db3d7, v7
	v_mov_b32_e32 v45, v12
	ds_store_2addr_b64 v11, v[0:1], v[4:5] offset1:150
	v_add_f32_e32 v0, v123, v127
	ds_store_b64 v11, v[2:3] offset:2400
	v_dual_add_f32 v1, v46, v123 :: v_dual_add_f32 v2, v47, v124
	v_sub_f32_e32 v4, v124, v128
	v_fma_f32 v46, -0.5, v0, v46
	v_sub_f32_e32 v5, v123, v127
	s_delay_alu instid0(VALU_DEP_4) | instskip(SKIP_1) | instid1(VALU_DEP_1)
	v_dual_add_f32 v0, v1, v127 :: v_dual_add_f32 v1, v2, v128
	v_add_f32_e32 v2, v124, v128
	v_dual_fmac_f32 v47, -0.5, v2 :: v_dual_and_b32 v2, 0xffff, v120
	s_delay_alu instid0(VALU_DEP_1) | instskip(SKIP_3) | instid1(VALU_DEP_4)
	v_dual_fmamk_f32 v3, v5, 0xbf5db3d7, v47 :: v_dual_lshlrev_b32 v6, 3, v2
	v_fmamk_f32 v2, v4, 0x3f5db3d7, v46
	v_fmac_f32_e32 v46, 0xbf5db3d7, v4
	v_fmac_f32_e32 v47, 0x3f5db3d7, v5
	v_add_nc_u32_e32 v7, 0x7000, v6
	s_clause 0x2
	scratch_store_b32 off, v6, off offset:260
	scratch_store_b32 off, v17, off offset:296
	;; [unrolled: 1-line block ×3, first 2 shown]
	v_lshlrev_b32_e32 v11, 4, v24
	scratch_store_b32 off, v7, off offset:264 ; 4-byte Folded Spill
	ds_store_2addr_b64 v7, v[0:1], v[2:3] offset0:16 offset1:166
	ds_store_b64 v6, v[46:47] offset:31200
	global_wb scope:SCOPE_SE
	s_wait_storecnt_dscnt 0x0
	s_barrier_signal -1
	s_barrier_wait -1
	global_inv scope:SCOPE_SE
	s_clause 0x3
	global_load_b128 v[4:7], v10, s[10:11] offset:3520
	global_load_b128 v[41:44], v10, s[10:11] offset:4960
	;; [unrolled: 1-line block ×4, first 2 shown]
	ds_load_2addr_b64 v[0:3], v12 offset0:70 offset1:205
	v_dual_mov_b32 v47, v39 :: v_dual_lshlrev_b32 v106, 4, v8
	s_wait_loadcnt 0x3
	v_mov_b32_e32 v15, v7
	v_mov_b32_e32 v13, v5
	s_wait_loadcnt_dscnt 0x100
	v_dual_mul_f32 v25, v2, v17 :: v_dual_mov_b32 v12, v4
	scratch_store_b128 off, v[16:19], off offset:348 ; 16-byte Folded Spill
	v_dual_fmac_f32 v25, v3, v16 :: v_dual_mov_b32 v14, v6
	v_mul_f32_e32 v4, v1, v13
	v_mul_f32_e32 v7, v0, v13
	scratch_store_b128 off, v[12:15], off offset:412 ; 16-byte Folded Spill
	v_fma_f32 v6, v0, v12, -v4
	v_dual_mul_f32 v0, v3, v17 :: v_dual_fmac_f32 v7, v1, v12
	v_mov_b32_e32 v12, v132
	s_delay_alu instid0(VALU_DEP_2)
	v_fma_f32 v24, v2, v16, -v0
	ds_load_2addr_b64 v[0:3], v95 offset0:12 offset1:147
	s_wait_dscnt 0x0
	v_mul_f32_e32 v4, v1, v15
	v_mul_f32_e32 v17, v0, v15
	;; [unrolled: 1-line block ×3, first 2 shown]
	s_delay_alu instid0(VALU_DEP_3) | instskip(NEXT) | instid1(VALU_DEP_3)
	v_fma_f32 v16, v0, v14, -v4
	v_dual_mul_f32 v0, v3, v19 :: v_dual_fmac_f32 v17, v1, v14
	s_delay_alu instid0(VALU_DEP_3) | instskip(NEXT) | instid1(VALU_DEP_2)
	v_fmac_f32_e32 v27, v3, v18
	v_fma_f32 v26, v2, v18, -v0
	v_add_co_u32 v0, s2, 0xffffffd3, v92
	s_wait_alu 0xf1ff
	v_add_co_ci_u32_e64 v1, null, 0, -1, s2
	s_wait_alu 0xfffd
	s_delay_alu instid0(VALU_DEP_2) | instskip(NEXT) | instid1(VALU_DEP_2)
	v_cndmask_b32_e32 v13, v0, v105, vcc_lo
	v_cndmask_b32_e32 v14, v1, v9, vcc_lo
	s_delay_alu instid0(VALU_DEP_1) | instskip(NEXT) | instid1(VALU_DEP_1)
	v_lshlrev_b64_e32 v[0:1], 4, v[13:14]
	v_add_co_u32 v4, vcc_lo, s10, v0
	s_wait_alu 0xfffd
	s_delay_alu instid0(VALU_DEP_2)
	v_add_co_ci_u32_e32 v5, vcc_lo, s11, v1, vcc_lo
	ds_load_2addr_b64 v[0:3], v93 offset1:135
	v_cmp_lt_u16_e32 vcc_lo, 44, v104
	s_wait_dscnt 0x0
	v_add_f32_e32 v9, v0, v6
	v_add_f32_e32 v15, v1, v7
	s_delay_alu instid0(VALU_DEP_2) | instskip(SKIP_1) | instid1(VALU_DEP_3)
	v_dual_add_f32 v14, v9, v16 :: v_dual_sub_f32 v9, v7, v17
	v_add_f32_e32 v7, v7, v17
	v_add_f32_e32 v15, v15, v17
	;; [unrolled: 1-line block ×3, first 2 shown]
	v_sub_f32_e32 v6, v6, v16
	s_delay_alu instid0(VALU_DEP_4) | instskip(SKIP_1) | instid1(VALU_DEP_4)
	v_fma_f32 v1, -0.5, v7, v1
	v_and_b32_e32 v7, 0xffff, v115
	v_fma_f32 v0, -0.5, v17, v0
	s_delay_alu instid0(VALU_DEP_3)
	v_fmamk_f32 v17, v6, 0xbf5db3d7, v1
	v_fmac_f32_e32 v1, 0x3f5db3d7, v6
	v_and_b32_e32 v6, 0xffff, v114
	v_mul_u32_u24_e32 v7, 0x91a3, v7
	v_fmamk_f32 v16, v9, 0x3f5db3d7, v0
	v_fmac_f32_e32 v0, 0xbf5db3d7, v9
	s_delay_alu instid0(VALU_DEP_4) | instskip(NEXT) | instid1(VALU_DEP_1)
	v_mul_u32_u24_e32 v6, 0x91a3, v6
	v_lshrrev_b32_e32 v28, 24, v6
	v_lshrrev_b32_e32 v6, 24, v7
	s_delay_alu instid0(VALU_DEP_2) | instskip(NEXT) | instid1(VALU_DEP_2)
	v_mul_lo_u16 v7, 0x1c2, v28
	v_mul_lo_u16 v6, 0x1c2, v6
	s_delay_alu instid0(VALU_DEP_2) | instskip(SKIP_1) | instid1(VALU_DEP_3)
	v_sub_nc_u16 v29, v114, v7
	v_and_b32_e32 v7, 0xffff, v116
	v_sub_nc_u16 v30, v115, v6
	s_delay_alu instid0(VALU_DEP_3) | instskip(NEXT) | instid1(VALU_DEP_3)
	v_lshlrev_b16 v9, 4, v29
	v_mul_u32_u24_e32 v7, 0x91a3, v7
	s_delay_alu instid0(VALU_DEP_3) | instskip(NEXT) | instid1(VALU_DEP_3)
	v_lshlrev_b16 v18, 4, v30
	v_and_b32_e32 v9, 0xffff, v9
	s_delay_alu instid0(VALU_DEP_3) | instskip(SKIP_1) | instid1(VALU_DEP_4)
	v_lshrrev_b32_e32 v6, 24, v7
	v_and_b32_e32 v7, 0xffff, v117
	v_and_b32_e32 v18, 0xffff, v18
	s_delay_alu instid0(VALU_DEP_3) | instskip(NEXT) | instid1(VALU_DEP_3)
	v_mul_lo_u16 v19, 0x1c2, v6
	v_mul_u32_u24_e32 v7, 0x91a3, v7
	v_add_co_u32 v6, s2, s10, v9
	s_delay_alu instid0(VALU_DEP_3) | instskip(NEXT) | instid1(VALU_DEP_3)
	v_sub_nc_u16 v31, v116, v19
	v_lshrrev_b32_e32 v20, 24, v7
	s_wait_alu 0xf1ff
	v_add_co_ci_u32_e64 v7, null, s11, 0, s2
	v_add_co_u32 v18, s2, s10, v18
	s_delay_alu instid0(VALU_DEP_3) | instskip(SKIP_2) | instid1(VALU_DEP_2)
	v_mul_lo_u16 v9, 0x1c2, v20
	s_wait_alu 0xf1ff
	v_add_co_ci_u32_e64 v19, null, s11, 0, s2
	v_sub_nc_u16 v32, v117, v9
	v_lshlrev_b16 v9, 4, v31
	s_delay_alu instid0(VALU_DEP_2) | instskip(NEXT) | instid1(VALU_DEP_2)
	v_lshlrev_b16 v20, 4, v32
	v_and_b32_e32 v9, 0xffff, v9
	s_delay_alu instid0(VALU_DEP_2) | instskip(NEXT) | instid1(VALU_DEP_2)
	v_and_b32_e32 v22, 0xffff, v20
	v_add_co_u32 v20, s2, s10, v9
	s_wait_alu 0xf1ff
	v_add_co_ci_u32_e64 v21, null, s11, 0, s2
	s_delay_alu instid0(VALU_DEP_3)
	v_add_co_u32 v22, s2, s10, v22
	s_wait_alu 0xf1ff
	v_add_co_ci_u32_e64 v23, null, s11, 0, s2
	s_clause 0x5
	global_load_b128 v[52:55], v[6:7], off offset:3520
	global_load_b128 v[48:51], v[18:19], off offset:3520
	global_load_b128 v[248:251], v[20:21], off offset:3520
	global_load_b128 v[252:255], v[22:23], off offset:3520
	global_load_b128 v[96:99], v[4:5], off offset:3520
	global_load_b128 v[100:103], v106, s[10:11] offset:3520
	ds_load_2addr_b64 v[4:7], v135 offset0:14 offset1:149
	ds_load_2addr_b64 v[107:110], v94 offset0:84 offset1:219
	;; [unrolled: 1-line block ×7, first 2 shown]
	v_mov_b32_e32 v46, v215
	ds_load_2addr_b64 v[215:218], v215 offset0:112 offset1:247
	ds_load_2addr_b64 v[219:222], v236 offset0:54 offset1:189
	v_mov_b32_e32 v18, v223
	ds_load_2addr_b64 v[223:226], v223 offset0:56 offset1:191
	ds_load_2addr_b64 v[227:230], v210 offset0:62 offset1:197
	ds_load_2addr_b64 v[231:234], v134 offset0:68 offset1:203
	global_wb scope:SCOPE_SE
	s_wait_storecnt 0x0
	s_wait_loadcnt_dscnt 0x0
	s_barrier_signal -1
	s_barrier_wait -1
	global_inv scope:SCOPE_SE
	ds_store_b64 v93, v[16:17] offset:3600
	ds_store_b64 v93, v[0:1] offset:7200
	v_dual_add_f32 v1, v3, v25 :: v_dual_add_f32 v16, v25, v27
	scratch_store_b128 off, v[41:44], off offset:480 ; 16-byte Folded Spill
	s_add_nc_u64 s[2:3], s[8:9], 0x7e90
	v_add_f32_e32 v1, v1, v27
	v_mul_f32_e32 v21, v132, v36
	v_mul_f32_e32 v19, v130, v44
	v_add_f32_e32 v0, v2, v24
	v_dual_fmac_f32 v3, -0.5, v16 :: v_dual_sub_f32 v16, v24, v26
	s_delay_alu instid0(VALU_DEP_4) | instskip(NEXT) | instid1(VALU_DEP_3)
	v_fmac_f32_e32 v21, v133, v35
	v_dual_fmac_f32 v19, v131, v43 :: v_dual_add_f32 v0, v0, v26
	ds_store_2addr_b64 v93, v[14:15], v[0:1] offset1:135
	v_mul_f32_e32 v23, v215, v53
	v_mul_f32_e32 v37, v230, v253
	v_mul_f32_e32 v0, v108, v101
	v_mul_f32_e32 v9, v107, v101
	v_mul_f32_e32 v15, v118, v103
	v_fmac_f32_e32 v23, v216, v52
	v_fma_f32 v37, v229, v252, -v37
	v_fma_f32 v8, v107, v100, -v0
	v_dual_fmac_f32 v9, v108, v100 :: v_dual_mul_f32 v0, v119, v103
	v_fmac_f32_e32 v15, v119, v102
	s_delay_alu instid0(VALU_DEP_2) | instskip(NEXT) | instid1(VALU_DEP_3)
	v_add_f32_e32 v1, v5, v9
	v_fma_f32 v14, v118, v102, -v0
	s_delay_alu instid0(VALU_DEP_3) | instskip(NEXT) | instid1(VALU_DEP_1)
	v_dual_add_f32 v0, v4, v8 :: v_dual_sub_f32 v17, v9, v15
	v_dual_add_f32 v1, v1, v15 :: v_dual_add_f32 v0, v0, v14
	ds_store_b64 v93, v[0:1] offset:2160
	v_dual_add_f32 v0, v24, v26 :: v_dual_sub_f32 v1, v25, v27
	v_mul_f32_e32 v27, v219, v55
	v_mul_f32_e32 v25, v217, v49
	s_delay_alu instid0(VALU_DEP_3) | instskip(NEXT) | instid1(VALU_DEP_3)
	v_fma_f32 v2, -0.5, v0, v2
	v_fmac_f32_e32 v27, v220, v54
	s_delay_alu instid0(VALU_DEP_2) | instskip(SKIP_4) | instid1(VALU_DEP_4)
	v_dual_fmac_f32 v25, v218, v48 :: v_dual_fmamk_f32 v0, v1, 0x3f5db3d7, v2
	v_dual_fmac_f32 v2, 0xbf5db3d7, v1 :: v_dual_add_f32 v1, v9, v15
	v_add_f32_e32 v9, v8, v14
	v_sub_f32_e32 v14, v8, v14
	v_mul_f32_e32 v15, v126, v42
	v_fma_f32 v5, -0.5, v1, v5
	s_delay_alu instid0(VALU_DEP_4)
	v_fma_f32 v4, -0.5, v9, v4
	v_fmamk_f32 v1, v16, 0xbf5db3d7, v3
	v_fmac_f32_e32 v3, 0x3f5db3d7, v16
	v_fmac_f32_e32 v15, v127, v41
	v_fmamk_f32 v9, v14, 0xbf5db3d7, v5
	v_fmamk_f32 v8, v17, 0x3f5db3d7, v4
	v_fmac_f32_e32 v4, 0xbf5db3d7, v17
	v_fmac_f32_e32 v5, 0x3f5db3d7, v14
	v_dual_mul_f32 v17, v128, v34 :: v_dual_mul_f32 v20, v133, v36
	ds_store_2addr_b64 v39, v[0:1], v[8:9] offset0:73 offset1:208
	s_wait_alu 0xfffd
	v_cndmask_b32_e64 v0, 0, 0x546, vcc_lo
	ds_store_2addr_b64 v18, v[2:3], v[4:5] offset0:11 offset1:146
	v_mul_f32_e32 v2, v110, v97
	v_mul_f32_e32 v4, v121, v99
	v_mul_f32_e32 v3, v109, v97
	v_mul_f32_e32 v5, v120, v99
	v_fmac_f32_e32 v17, v129, v33
	v_fma_f32 v2, v109, v96, -v2
	v_fma_f32 v4, v120, v98, -v4
	v_fmac_f32_e32 v3, v110, v96
	v_fmac_f32_e32 v5, v121, v98
	v_add_lshl_u32 v13, v13, v0, 3
	v_mov_b32_e32 v40, v18
	v_add_f32_e32 v0, v2, v4
	v_mul_f32_e32 v18, v131, v44
	v_dual_add_f32 v8, v6, v2 :: v_dual_add_f32 v1, v7, v3
	v_mul_f32_e32 v14, v127, v42
	s_delay_alu instid0(VALU_DEP_4)
	v_fma_f32 v6, -0.5, v0, v6
	v_add_f32_e32 v0, v3, v5
	v_fma_f32 v18, v130, v43, -v18
	v_add_f32_e32 v1, v1, v5
	v_fma_f32 v14, v126, v41, -v14
	v_sub_f32_e32 v9, v3, v5
	v_fmac_f32_e32 v7, -0.5, v0
	v_add_f32_e32 v0, v8, v4
	v_dual_sub_f32 v4, v2, v4 :: v_dual_add_nc_u32 v43, 0x2c00, v93
	v_mul_f32_e32 v16, v129, v34
	v_dual_mul_f32 v26, v220, v55 :: v_dual_sub_f32 v5, v17, v21
	ds_store_b64 v13, v[0:1]
	v_add_f32_e32 v0, v14, v18
	v_fmamk_f32 v2, v9, 0x3f5db3d7, v6
	v_dual_fmamk_f32 v3, v4, 0xbf5db3d7, v7 :: v_dual_fmac_f32 v6, 0xbf5db3d7, v9
	v_fmac_f32_e32 v7, 0x3f5db3d7, v4
	s_delay_alu instid0(VALU_DEP_4)
	v_fma_f32 v0, -0.5, v0, v122
	v_sub_f32_e32 v1, v15, v19
	s_clause 0x1
	scratch_store_b128 off, v[33:36], off offset:464
	scratch_store_b32 off, v13, off offset:256
	v_mul_f32_e32 v22, v216, v53
	v_fma_f32 v26, v219, v54, -v26
	ds_store_b64 v13, v[6:7] offset:7200
	ds_store_b64 v13, v[2:3] offset:3600
	v_fmamk_f32 v2, v1, 0x3f5db3d7, v0
	v_dual_fmac_f32 v0, 0xbf5db3d7, v1 :: v_dual_add_f32 v1, v15, v19
	v_fma_f32 v16, v128, v33, -v16
	v_fma_f32 v20, v132, v35, -v20
	v_sub_f32_e32 v4, v14, v18
	v_mul_f32_e32 v33, v222, v51
	v_fma_f32 v1, -0.5, v1, v123
	v_mul_f32_e32 v24, v218, v49
	v_dual_add_f32 v6, v124, v16 :: v_dual_mul_f32 v9, v231, v251
	s_delay_alu instid0(VALU_DEP_3)
	v_dual_mul_f32 v36, v227, v249 :: v_dual_fmamk_f32 v3, v4, 0xbf5db3d7, v1
	v_fmac_f32_e32 v1, 0x3f5db3d7, v4
	v_add_f32_e32 v4, v16, v20
	v_fma_f32 v24, v217, v48, -v24
	v_fma_f32 v33, v221, v50, -v33
	v_fmac_f32_e32 v9, v232, v250
	v_fmac_f32_e32 v36, v228, v248
	v_fma_f32 v124, -0.5, v4, v124
	v_dual_add_f32 v7, v125, v17 :: v_dual_sub_f32 v8, v16, v20
	v_mul_f32_e32 v38, v229, v253
	v_add_f32_e32 v6, v6, v20
	s_delay_alu instid0(VALU_DEP_4)
	v_fmamk_f32 v4, v5, 0x3f5db3d7, v124
	v_fmac_f32_e32 v124, 0xbf5db3d7, v5
	v_add_f32_e32 v5, v17, v21
	v_add_f32_e32 v7, v7, v21
	v_fma_f32 v22, v215, v52, -v22
	v_mov_b32_e32 v17, v12
	v_mul_f32_e32 v35, v228, v249
	v_dual_fmac_f32 v125, -0.5, v5 :: v_dual_mul_f32 v34, v221, v51
	v_dual_mul_f32 v13, v234, v255 :: v_dual_mov_b32 v42, v235
	s_delay_alu instid0(VALU_DEP_3) | instskip(NEXT) | instid1(VALU_DEP_3)
	v_fma_f32 v35, v227, v248, -v35
	v_dual_fmamk_f32 v5, v8, 0xbf5db3d7, v125 :: v_dual_fmac_f32 v34, v222, v50
	v_fmac_f32_e32 v125, 0x3f5db3d7, v8
	v_add_nc_u32_e32 v8, 0x4800, v93
	v_fma_f32 v13, v233, v254, -v13
	v_add_nc_u32_e32 v41, 0x3400, v93
	ds_store_2addr_b64 v8, v[0:1], v[124:125] offset0:36 offset1:171
	v_dual_add_f32 v0, v122, v14 :: v_dual_add_f32 v1, v123, v15
	v_fmac_f32_e32 v38, v230, v252
	v_mul_f32_e32 v14, v233, v255
	s_delay_alu instid0(VALU_DEP_3)
	v_dual_add_f32 v0, v0, v18 :: v_dual_add_f32 v1, v1, v19
	ds_store_2addr_b64 v43, v[0:1], v[6:7] offset0:32 offset1:167
	ds_store_2addr_b64 v12, v[2:3], v[4:5] offset0:98 offset1:233
	v_mad_u16 v4, 0x546, v28, v29
	v_dual_add_f32 v0, v211, v22 :: v_dual_add_f32 v1, v212, v23
	v_dual_add_f32 v3, v23, v27 :: v_dual_add_f32 v2, v22, v26
	s_delay_alu instid0(VALU_DEP_3) | instskip(NEXT) | instid1(VALU_DEP_3)
	v_and_b32_e32 v4, 0xffff, v4
	v_dual_add_f32 v0, v0, v26 :: v_dual_add_f32 v1, v1, v27
	v_sub_f32_e32 v6, v23, v27
	s_delay_alu instid0(VALU_DEP_4) | instskip(SKIP_2) | instid1(VALU_DEP_3)
	v_fma_f32 v2, -0.5, v2, v211
	v_fma_f32 v3, -0.5, v3, v212
	v_dual_sub_f32 v7, v22, v26 :: v_dual_lshlrev_b32 v12, 3, v4
	v_fmamk_f32 v4, v6, 0x3f5db3d7, v2
	s_delay_alu instid0(VALU_DEP_2)
	v_dual_fmac_f32 v2, 0xbf5db3d7, v6 :: v_dual_fmamk_f32 v5, v7, 0xbf5db3d7, v3
	ds_store_b64 v12, v[0:1]
	v_dual_add_f32 v0, v24, v33 :: v_dual_fmac_f32 v3, 0x3f5db3d7, v7
	scratch_store_b32 off, v12, off offset:276 ; 4-byte Folded Spill
	ds_store_b64 v12, v[4:5] offset:3600
	ds_store_b64 v12, v[2:3] offset:7200
	v_add_f32_e32 v2, v213, v24
	v_fma_f32 v213, -0.5, v0, v213
	v_dual_add_f32 v0, v25, v34 :: v_dual_add_f32 v1, v214, v25
	v_dual_sub_f32 v4, v25, v34 :: v_dual_sub_f32 v5, v24, v33
	s_delay_alu instid0(VALU_DEP_2) | instskip(SKIP_3) | instid1(VALU_DEP_4)
	v_fmac_f32_e32 v214, -0.5, v0
	v_add_f32_e32 v0, v2, v33
	v_and_b32_e32 v2, 0xffff, v30
	v_add_f32_e32 v1, v1, v34
	v_fmamk_f32 v3, v5, 0xbf5db3d7, v214
	v_fmac_f32_e32 v214, 0x3f5db3d7, v5
	s_delay_alu instid0(VALU_DEP_4)
	v_lshlrev_b32_e32 v6, 3, v2
	v_fmamk_f32 v2, v4, 0x3f5db3d7, v213
	v_fmac_f32_e32 v213, 0xbf5db3d7, v4
	v_dual_mov_b32 v31, v236 :: v_dual_and_b32 v4, 0xffff, v31
	ds_store_b64 v6, v[0:1] offset:21600
	v_add_f32_e32 v1, v224, v36
	v_mul_f32_e32 v8, v232, v251
	v_add_f32_e32 v0, v223, v35
	v_lshlrev_b32_e32 v4, 3, v4
	scratch_store_b32 off, v6, off offset:308 ; 4-byte Folded Spill
	v_add_f32_e32 v1, v1, v9
	v_fma_f32 v8, v231, v250, -v8
	v_dual_add_f32 v5, v226, v38 :: v_dual_mov_b32 v12, v4
	s_delay_alu instid0(VALU_DEP_2)
	v_add_f32_e32 v0, v0, v8
	ds_store_b64 v6, v[213:214] offset:28800
	ds_store_b64 v4, v[0:1] offset:21600
	v_dual_add_f32 v1, v36, v9 :: v_dual_add_f32 v0, v35, v8
	v_fmac_f32_e32 v14, v234, v254
	ds_store_b64 v6, v[2:3] offset:25200
	v_sub_f32_e32 v3, v36, v9
	v_fma_f32 v1, -0.5, v1, v224
	v_fma_f32 v0, -0.5, v0, v223
	v_sub_f32_e32 v4, v35, v8
	v_dual_add_f32 v5, v5, v14 :: v_dual_and_b32 v6, 0xffff, v32
	s_delay_alu instid0(VALU_DEP_3) | instskip(NEXT) | instid1(VALU_DEP_3)
	v_fmamk_f32 v2, v3, 0x3f5db3d7, v0
	v_dual_fmac_f32 v0, 0xbf5db3d7, v3 :: v_dual_fmamk_f32 v3, v4, 0xbf5db3d7, v1
	v_dual_fmac_f32 v1, 0x3f5db3d7, v4 :: v_dual_add_f32 v4, v225, v37
	s_delay_alu instid0(VALU_DEP_4)
	v_dual_sub_f32 v6, v37, v13 :: v_dual_lshlrev_b32 v7, 3, v6
	scratch_store_b32 off, v12, off offset:328 ; 4-byte Folded Spill
	ds_store_b64 v12, v[0:1] offset:28800
	v_dual_add_f32 v0, v37, v13 :: v_dual_sub_f32 v1, v38, v14
	v_add_f32_e32 v4, v4, v13
	scratch_store_b32 off, v7, off offset:304 ; 4-byte Folded Spill
	v_fma_f32 v225, -0.5, v0, v225
	v_add_f32_e32 v0, v38, v14
	s_delay_alu instid0(VALU_DEP_1) | instskip(NEXT) | instid1(VALU_DEP_3)
	v_fmac_f32_e32 v226, -0.5, v0
	v_fmamk_f32 v0, v1, 0x3f5db3d7, v225
	v_fmac_f32_e32 v225, 0xbf5db3d7, v1
	s_delay_alu instid0(VALU_DEP_3)
	v_fmamk_f32 v1, v6, 0xbf5db3d7, v226
	v_fmac_f32_e32 v226, 0x3f5db3d7, v6
	ds_store_b64 v7, v[225:226] offset:28800
	ds_store_b64 v12, v[2:3] offset:25200
	;; [unrolled: 1-line block ×4, first 2 shown]
	global_wb scope:SCOPE_SE
	s_wait_storecnt_dscnt 0x0
	s_barrier_signal -1
	s_barrier_wait -1
	global_inv scope:SCOPE_SE
	s_clause 0x1
	global_load_b128 v[13:16], v10, s[10:11] offset:10720
	global_load_b128 v[6:9], v11, s[10:11] offset:10720
	ds_load_2addr_b64 v[0:3], v45 offset0:70 offset1:205
	v_mov_b32_e32 v12, v134
	s_wait_loadcnt_dscnt 0x100
	v_mul_f32_e32 v4, v1, v14
	scratch_store_b128 off, v[13:16], off offset:332 ; 16-byte Folded Spill
	s_wait_loadcnt 0x0
	scratch_store_b128 off, v[6:9], off offset:312 ; 16-byte Folded Spill
	v_dual_mul_f32 v5, v0, v14 :: v_dual_mul_f32 v14, v2, v7
	v_fma_f32 v4, v0, v13, -v4
	s_delay_alu instid0(VALU_DEP_2) | instskip(NEXT) | instid1(VALU_DEP_3)
	v_dual_mul_f32 v0, v3, v7 :: v_dual_fmac_f32 v5, v1, v13
	v_fmac_f32_e32 v14, v3, v6
	s_delay_alu instid0(VALU_DEP_2) | instskip(SKIP_4) | instid1(VALU_DEP_2)
	v_fma_f32 v13, v2, v6, -v0
	ds_load_2addr_b64 v[0:3], v95 offset0:12 offset1:147
	s_wait_dscnt 0x0
	v_dual_mov_b32 v95, v46 :: v_dual_mul_f32 v6, v1, v16
	v_dual_mul_f32 v7, v0, v16 :: v_dual_mul_f32 v16, v2, v9
	v_fma_f32 v6, v0, v15, -v6
	s_delay_alu instid0(VALU_DEP_2) | instskip(NEXT) | instid1(VALU_DEP_3)
	v_dual_mul_f32 v0, v3, v9 :: v_dual_fmac_f32 v7, v1, v15
	v_fmac_f32_e32 v16, v3, v8
	s_delay_alu instid0(VALU_DEP_2)
	v_fma_f32 v15, v2, v8, -v0
	ds_load_2addr_b64 v[0:3], v93 offset1:135
	v_sub_f32_e32 v11, v5, v7
	s_wait_dscnt 0x0
	v_add_f32_e32 v9, v1, v5
	v_dual_add_f32 v5, v5, v7 :: v_dual_add_f32 v8, v0, v4
	s_delay_alu instid0(VALU_DEP_2) | instskip(SKIP_1) | instid1(VALU_DEP_3)
	v_add_f32_e32 v9, v9, v7
	v_add_f32_e32 v7, v4, v6
	v_fma_f32 v1, -0.5, v5, v1
	v_sub_f32_e32 v4, v4, v6
	v_add_f32_e32 v8, v8, v6
	s_delay_alu instid0(VALU_DEP_4) | instskip(NEXT) | instid1(VALU_DEP_1)
	v_fma_f32 v0, -0.5, v7, v0
	v_fmamk_f32 v10, v11, 0x3f5db3d7, v0
	s_delay_alu instid0(VALU_DEP_4)
	v_dual_fmac_f32 v0, 0xbf5db3d7, v11 :: v_dual_fmamk_f32 v11, v4, 0xbf5db3d7, v1
	v_fmac_f32_e32 v1, 0x3f5db3d7, v4
	ds_load_2addr_b64 v[4:7], v135 offset0:14 offset1:149
	ds_load_2addr_b64 v[118:121], v94 offset0:84 offset1:219
	;; [unrolled: 1-line block ×12, first 2 shown]
	ds_store_b64 v93, v[10:11] offset:10800
	ds_store_b64 v93, v[0:1] offset:21600
	v_dual_add_f32 v0, v2, v13 :: v_dual_add_f32 v1, v3, v14
	v_add_nc_u32_e32 v94, 0x5800, v93
	v_mov_b32_e32 v46, v135
	s_delay_alu instid0(VALU_DEP_3) | instskip(SKIP_3) | instid1(VALU_DEP_2)
	v_dual_add_f32 v0, v0, v15 :: v_dual_add_f32 v1, v1, v16
	ds_store_2addr_b64 v93, v[8:9], v[0:1] offset1:135
	v_dual_add_f32 v0, v13, v15 :: v_dual_sub_f32 v1, v14, v16
	v_sub_f32_e32 v8, v13, v15
	v_fma_f32 v2, -0.5, v0, v2
	v_add_f32_e32 v0, v14, v16
	s_delay_alu instid0(VALU_DEP_1) | instskip(NEXT) | instid1(VALU_DEP_1)
	v_dual_fmac_f32 v3, -0.5, v0 :: v_dual_fmamk_f32 v0, v1, 0x3f5db3d7, v2
	v_dual_fmac_f32 v2, 0xbf5db3d7, v1 :: v_dual_fmamk_f32 v1, v8, 0xbf5db3d7, v3
	v_dual_fmac_f32 v3, 0x3f5db3d7, v8 :: v_dual_lshlrev_b32 v8, 4, v105
	s_clause 0x1
	global_load_b128 v[108:111], v106, s[10:11] offset:10720
	global_load_b128 v[104:107], v8, s[10:11] offset:10720
	s_wait_loadcnt_dscnt 0x10d
	v_mul_f32_e32 v8, v119, v109
	v_mul_f32_e32 v14, v118, v109
	s_wait_dscnt 0xc
	v_mul_f32_e32 v16, v122, v111
	s_wait_loadcnt 0x0
	v_mul_f32_e32 v18, v124, v107
	v_fma_f32 v13, v118, v108, -v8
	v_mul_f32_e32 v8, v123, v111
	v_fmac_f32_e32 v14, v119, v108
	v_fmac_f32_e32 v16, v123, v110
	;; [unrolled: 1-line block ×3, first 2 shown]
	s_delay_alu instid0(VALU_DEP_4) | instskip(NEXT) | instid1(VALU_DEP_1)
	v_fma_f32 v15, v122, v110, -v8
	v_dual_sub_f32 v9, v14, v16 :: v_dual_add_f32 v8, v13, v15
	v_sub_f32_e32 v17, v13, v15
	s_delay_alu instid0(VALU_DEP_2) | instskip(NEXT) | instid1(VALU_DEP_1)
	v_fma_f32 v8, -0.5, v8, v4
	v_fmamk_f32 v10, v9, 0x3f5db3d7, v8
	v_dual_fmac_f32 v8, 0xbf5db3d7, v9 :: v_dual_add_f32 v9, v14, v16
	s_delay_alu instid0(VALU_DEP_1) | instskip(NEXT) | instid1(VALU_DEP_1)
	v_fma_f32 v9, -0.5, v9, v5
	v_fmamk_f32 v11, v17, 0xbf5db3d7, v9
	v_fmac_f32_e32 v9, 0x3f5db3d7, v17
	ds_store_2addr_b64 v43, v[0:1], v[10:11] offset0:77 offset1:212
	ds_store_2addr_b64 v94, v[2:3], v[8:9] offset0:19 offset1:154
	v_mul_f32_e32 v2, v121, v105
	v_mul_f32_e32 v9, v120, v105
	v_dual_add_f32 v0, v4, v13 :: v_dual_add_f32 v1, v5, v14
	s_delay_alu instid0(VALU_DEP_3) | instskip(NEXT) | instid1(VALU_DEP_3)
	v_fma_f32 v8, v120, v104, -v2
	v_fmac_f32_e32 v9, v121, v104
	v_mul_f32_e32 v2, v125, v107
	s_delay_alu instid0(VALU_DEP_4) | instskip(NEXT) | instid1(VALU_DEP_3)
	v_dual_add_f32 v0, v0, v15 :: v_dual_add_f32 v1, v1, v16
	v_add_f32_e32 v3, v7, v9
	s_delay_alu instid0(VALU_DEP_3) | instskip(NEXT) | instid1(VALU_DEP_2)
	v_fma_f32 v17, v124, v106, -v2
	v_dual_add_f32 v2, v6, v8 :: v_dual_add_f32 v3, v3, v18
	s_delay_alu instid0(VALU_DEP_1) | instskip(SKIP_3) | instid1(VALU_DEP_2)
	v_add_f32_e32 v2, v2, v17
	ds_store_2addr_b64 v135, v[0:1], v[2:3] offset0:14 offset1:149
	v_dual_add_f32 v0, v8, v17 :: v_dual_sub_f32 v1, v9, v18
	v_dual_sub_f32 v2, v8, v17 :: v_dual_lshlrev_b32 v3, 4, v112
	v_fma_f32 v6, -0.5, v0, v6
	v_add_f32_e32 v0, v9, v18
	s_delay_alu instid0(VALU_DEP_1) | instskip(NEXT) | instid1(VALU_DEP_1)
	v_dual_fmac_f32 v7, -0.5, v0 :: v_dual_fmamk_f32 v0, v1, 0x3f5db3d7, v6
	v_dual_fmac_f32 v6, 0xbf5db3d7, v1 :: v_dual_fmamk_f32 v1, v2, 0xbf5db3d7, v7
	v_dual_fmac_f32 v7, 0x3f5db3d7, v2 :: v_dual_lshlrev_b32 v2, 4, v113
	s_clause 0x1
	global_load_b128 v[132:135], v2, s[10:11] offset:10720
	global_load_b128 v[124:127], v3, s[10:11] offset:10720
	s_wait_loadcnt_dscnt 0x10d
	v_mul_f32_e32 v2, v129, v133
	v_mul_f32_e32 v9, v128, v133
	s_wait_dscnt 0xc
	v_mul_f32_e32 v11, v215, v135
	s_wait_loadcnt 0x0
	v_mul_f32_e32 v14, v217, v127
	v_fma_f32 v8, v128, v132, -v2
	v_dual_mul_f32 v2, v216, v135 :: v_dual_fmac_f32 v9, v129, v132
	v_fmac_f32_e32 v11, v216, v134
	s_delay_alu instid0(VALU_DEP_4) | instskip(NEXT) | instid1(VALU_DEP_3)
	v_fmac_f32_e32 v14, v218, v126
	v_fma_f32 v10, v215, v134, -v2
	s_delay_alu instid0(VALU_DEP_1) | instskip(SKIP_1) | instid1(VALU_DEP_2)
	v_dual_sub_f32 v3, v9, v11 :: v_dual_add_f32 v2, v8, v10
	v_sub_f32_e32 v13, v8, v10
	v_fma_f32 v2, -0.5, v2, v211
	s_delay_alu instid0(VALU_DEP_1) | instskip(SKIP_2) | instid1(VALU_DEP_1)
	v_fmamk_f32 v4, v3, 0x3f5db3d7, v2
	v_fmac_f32_e32 v2, 0xbf5db3d7, v3
	v_add_f32_e32 v3, v9, v11
	v_fma_f32 v3, -0.5, v3, v212
	s_delay_alu instid0(VALU_DEP_1)
	v_fmamk_f32 v5, v13, 0xbf5db3d7, v3
	v_fmac_f32_e32 v3, 0x3f5db3d7, v13
	v_add_nc_u32_e32 v13, 0x6000, v93
	ds_store_2addr_b64 v13, v[6:7], v[2:3] offset0:33 offset1:168
	v_mul_f32_e32 v2, v131, v125
	v_dual_mov_b32 v44, v13 :: v_dual_mul_f32 v7, v130, v125
	v_lshlrev_b32_e32 v3, 4, v115
	s_delay_alu instid0(VALU_DEP_3) | instskip(NEXT) | instid1(VALU_DEP_3)
	v_fma_f32 v6, v130, v124, -v2
	v_dual_mul_f32 v2, v218, v127 :: v_dual_fmac_f32 v7, v131, v124
	s_delay_alu instid0(VALU_DEP_1)
	v_fma_f32 v13, v217, v126, -v2
	v_lshlrev_b32_e32 v2, 4, v114
	s_clause 0x1
	global_load_b128 v[128:131], v2, s[10:11] offset:10720
	global_load_b128 v[120:123], v3, s[10:11] offset:10720
	v_lshlrev_b32_e32 v3, 4, v117
	s_wait_loadcnt_dscnt 0x10b
	v_mul_f32_e32 v2, v224, v129
	v_mul_f32_e32 v16, v223, v129
	s_wait_dscnt 0xa
	v_mul_f32_e32 v20, v227, v131
	s_wait_loadcnt 0x0
	v_mul_f32_e32 v18, v225, v121
	v_mul_f32_e32 v22, v229, v123
	v_fma_f32 v15, v223, v128, -v2
	v_mul_f32_e32 v2, v226, v121
	v_fmac_f32_e32 v16, v224, v128
	v_fmac_f32_e32 v20, v228, v130
	v_fmac_f32_e32 v18, v226, v120
	v_fmac_f32_e32 v22, v230, v122
	v_fma_f32 v17, v225, v120, -v2
	v_mul_f32_e32 v2, v228, v131
	s_delay_alu instid0(VALU_DEP_1) | instskip(SKIP_1) | instid1(VALU_DEP_1)
	v_fma_f32 v19, v227, v130, -v2
	v_mul_f32_e32 v2, v230, v123
	v_fma_f32 v21, v229, v122, -v2
	v_lshlrev_b32_e32 v2, 4, v116
	s_clause 0x1
	global_load_b128 v[116:119], v2, s[10:11] offset:10720
	global_load_b128 v[112:115], v3, s[10:11] offset:10720
	ds_store_2addr_b64 v41, v[0:1], v[4:5] offset0:91 offset1:226
	v_dual_add_f32 v0, v211, v8 :: v_dual_add_f32 v1, v212, v9
	v_dual_add_f32 v3, v214, v7 :: v_dual_add_nc_u32 v8, 0x3c00, v93
	v_add_f32_e32 v9, v222, v18
	s_delay_alu instid0(VALU_DEP_3) | instskip(NEXT) | instid1(VALU_DEP_3)
	v_dual_add_f32 v0, v0, v10 :: v_dual_add_f32 v1, v1, v11
	v_add_f32_e32 v3, v3, v14
	v_dual_add_f32 v10, v219, v15 :: v_dual_add_f32 v11, v220, v16
	s_wait_loadcnt_dscnt 0x109
	v_dual_add_f32 v9, v9, v22 :: v_dual_mul_f32 v2, v236, v117
	s_wait_loadcnt 0x0
	v_mul_f32_e32 v26, v237, v113
	v_mul_f32_e32 v24, v235, v117
	s_wait_dscnt 0x8
	v_mul_f32_e32 v28, v239, v119
	v_mul_f32_e32 v30, v241, v115
	v_fma_f32 v23, v235, v116, -v2
	v_mul_f32_e32 v2, v238, v113
	v_fmac_f32_e32 v24, v236, v116
	v_fmac_f32_e32 v28, v240, v118
	;; [unrolled: 1-line block ×4, first 2 shown]
	v_fma_f32 v25, v237, v112, -v2
	v_mul_f32_e32 v2, v240, v119
	v_mov_b32_e32 v237, v8
	v_dual_mov_b32 v235, v31 :: v_dual_mov_b32 v238, v12
	s_delay_alu instid0(VALU_DEP_3) | instskip(SKIP_1) | instid1(VALU_DEP_1)
	v_fma_f32 v27, v239, v118, -v2
	v_mul_f32_e32 v2, v242, v115
	v_fma_f32 v29, v241, v114, -v2
	v_add_f32_e32 v2, v213, v6
	s_delay_alu instid0(VALU_DEP_1) | instskip(SKIP_4) | instid1(VALU_DEP_3)
	v_add_f32_e32 v2, v2, v13
	ds_store_2addr_b64 v39, v[0:1], v[2:3] offset0:28 offset1:163
	v_dual_add_f32 v0, v6, v13 :: v_dual_sub_f32 v1, v7, v14
	v_dual_sub_f32 v2, v6, v13 :: v_dual_add_f32 v3, v16, v20
	v_sub_f32_e32 v6, v16, v20
	v_fma_f32 v213, -0.5, v0, v213
	v_add_f32_e32 v0, v7, v14
	v_sub_f32_e32 v7, v15, v19
	v_fma_f32 v3, -0.5, v3, v220
	v_dual_add_f32 v13, v233, v25 :: v_dual_add_f32 v14, v234, v26
	s_delay_alu instid0(VALU_DEP_4)
	v_fmac_f32_e32 v214, -0.5, v0
	v_fmamk_f32 v0, v1, 0x3f5db3d7, v213
	v_fmac_f32_e32 v213, 0xbf5db3d7, v1
	v_fmamk_f32 v5, v7, 0xbf5db3d7, v3
	v_fmac_f32_e32 v3, 0x3f5db3d7, v7
	;; [unrolled: 2-line block ×3, first 2 shown]
	v_dual_add_f32 v2, v15, v19 :: v_dual_sub_f32 v7, v26, v30
	v_dual_sub_f32 v15, v25, v29 :: v_dual_add_f32 v16, v232, v24
	ds_store_b64 v93, v[213:214] offset:27000
	v_fma_f32 v2, -0.5, v2, v219
	s_delay_alu instid0(VALU_DEP_1)
	v_fmamk_f32 v4, v6, 0x3f5db3d7, v2
	v_fmac_f32_e32 v2, 0xbf5db3d7, v6
	v_sub_f32_e32 v6, v23, v27
	ds_store_2addr_b64 v8, v[0:1], v[4:5] offset0:105 offset1:240
	v_add_f32_e32 v0, v17, v21
	v_dual_add_f32 v8, v221, v17 :: v_dual_sub_f32 v1, v18, v22
	v_sub_f32_e32 v4, v17, v21
	s_delay_alu instid0(VALU_DEP_3) | instskip(NEXT) | instid1(VALU_DEP_3)
	v_fma_f32 v221, -0.5, v0, v221
	v_add_f32_e32 v8, v8, v21
	s_delay_alu instid0(VALU_DEP_2) | instskip(SKIP_2) | instid1(VALU_DEP_1)
	v_fmamk_f32 v0, v1, 0x3f5db3d7, v221
	v_fmac_f32_e32 v221, 0xbf5db3d7, v1
	v_add_f32_e32 v1, v18, v22
	v_fmac_f32_e32 v222, -0.5, v1
	s_delay_alu instid0(VALU_DEP_1) | instskip(SKIP_3) | instid1(VALU_DEP_1)
	v_fmamk_f32 v1, v4, 0xbf5db3d7, v222
	v_fmac_f32_e32 v222, 0x3f5db3d7, v4
	ds_store_2addr_b64 v31, v[2:3], v[221:222] offset0:54 offset1:189
	v_dual_add_f32 v2, v23, v27 :: v_dual_sub_f32 v3, v24, v28
	v_fma_f32 v2, -0.5, v2, v231
	s_delay_alu instid0(VALU_DEP_1) | instskip(SKIP_1) | instid1(VALU_DEP_1)
	v_fmamk_f32 v4, v3, 0x3f5db3d7, v2
	v_dual_fmac_f32 v2, 0xbf5db3d7, v3 :: v_dual_add_f32 v3, v24, v28
	v_fma_f32 v3, -0.5, v3, v232
	s_delay_alu instid0(VALU_DEP_1) | instskip(SKIP_1) | instid1(VALU_DEP_1)
	v_fmamk_f32 v5, v6, 0xbf5db3d7, v3
	v_dual_fmac_f32 v3, 0x3f5db3d7, v6 :: v_dual_add_f32 v6, v25, v29
	v_fma_f32 v233, -0.5, v6, v233
	s_delay_alu instid0(VALU_DEP_1) | instskip(SKIP_2) | instid1(VALU_DEP_1)
	v_fmamk_f32 v6, v7, 0x3f5db3d7, v233
	v_fmac_f32_e32 v233, 0xbf5db3d7, v7
	v_add_f32_e32 v7, v26, v30
	v_fmac_f32_e32 v234, -0.5, v7
	s_delay_alu instid0(VALU_DEP_1)
	v_fmamk_f32 v7, v15, 0xbf5db3d7, v234
	v_fmac_f32_e32 v234, 0x3f5db3d7, v15
	v_add_f32_e32 v15, v231, v23
	ds_store_2addr_b64 v12, v[2:3], v[233:234] offset0:68 offset1:203
	v_dual_add_f32 v2, v10, v19 :: v_dual_add_f32 v3, v11, v20
	v_mov_b32_e32 v12, v235
	ds_store_2addr_b64 v42, v[2:3], v[8:9] offset0:42 offset1:177
	v_dual_add_f32 v3, v14, v30 :: v_dual_add_nc_u32 v2, 0x4400, v93
	ds_store_2addr_b64 v2, v[0:1], v[4:5] offset0:119 offset1:254
	v_mov_b32_e32 v92, v2
	v_dual_add_f32 v0, v15, v27 :: v_dual_add_f32 v1, v16, v28
	v_add_f32_e32 v2, v13, v29
	ds_store_2addr_b64 v40, v[0:1], v[2:3] offset0:56 offset1:191
	ds_store_b64 v93, v[6:7] offset:20520
	global_wb scope:SCOPE_SE
	s_wait_storecnt_dscnt 0x0
	s_barrier_signal -1
	s_barrier_wait -1
	global_inv scope:SCOPE_SE
	s_clause 0x1
	global_load_b64 v[4:5], v93, s[8:9] offset:32400
	global_load_b64 v[6:7], v93, s[2:3] offset:31320
	ds_load_2addr_b64 v[0:3], v93 offset1:135
	s_wait_loadcnt_dscnt 0x100
	v_mul_f32_e32 v8, v1, v5
	v_mul_f32_e32 v9, v0, v5
	s_delay_alu instid0(VALU_DEP_2) | instskip(NEXT) | instid1(VALU_DEP_2)
	v_fma_f32 v8, v0, v4, -v8
	v_fmac_f32_e32 v9, v1, v4
	s_clause 0x2
	global_load_b64 v[0:1], v93, s[2:3] offset:1080
	global_load_b64 v[4:5], v93, s[2:3] offset:4320
	;; [unrolled: 1-line block ×3, first 2 shown]
	ds_store_b64 v93, v[8:9]
	s_clause 0x3
	global_load_b64 v[8:9], v93, s[2:3] offset:6480
	global_load_b64 v[15:16], v93, s[2:3] offset:7560
	;; [unrolled: 1-line block ×4, first 2 shown]
	s_wait_loadcnt 0x6
	v_mul_f32_e32 v13, v3, v1
	v_mul_f32_e32 v14, v2, v1
	s_delay_alu instid0(VALU_DEP_2) | instskip(NEXT) | instid1(VALU_DEP_2)
	v_fma_f32 v13, v2, v0, -v13
	v_fmac_f32_e32 v14, v3, v0
	ds_load_2addr_b64 v[0:3], v42 offset0:42 offset1:177
	s_wait_loadcnt_dscnt 0x300
	v_mul_f32_e32 v21, v1, v9
	s_wait_loadcnt 0x2
	v_dual_mul_f32 v22, v0, v9 :: v_dual_mul_f32 v9, v2, v16
	s_delay_alu instid0(VALU_DEP_2) | instskip(SKIP_1) | instid1(VALU_DEP_3)
	v_fma_f32 v21, v0, v8, -v21
	v_mul_f32_e32 v0, v3, v16
	v_dual_fmac_f32 v22, v1, v8 :: v_dual_fmac_f32 v9, v3, v15
	s_delay_alu instid0(VALU_DEP_2)
	v_fma_f32 v8, v2, v15, -v0
	s_clause 0x1
	global_load_b64 v[15:16], v93, s[2:3] offset:12960
	global_load_b64 v[23:24], v93, s[2:3] offset:11880
	ds_load_2addr_b64 v[0:3], v208 offset0:84 offset1:219
	s_wait_loadcnt_dscnt 0x100
	v_mul_f32_e32 v25, v1, v16
	v_mul_f32_e32 v26, v0, v16
	s_delay_alu instid0(VALU_DEP_2) | instskip(NEXT) | instid1(VALU_DEP_2)
	v_fma_f32 v25, v0, v15, -v25
	v_fmac_f32_e32 v26, v1, v15
	s_clause 0x6
	global_load_b64 v[0:1], v93, s[2:3] offset:14040
	global_load_b64 v[15:16], v93, s[2:3] offset:17280
	;; [unrolled: 1-line block ×7, first 2 shown]
	s_wait_loadcnt 0x6
	v_mul_f32_e32 v29, v3, v1
	v_mul_f32_e32 v30, v2, v1
	s_delay_alu instid0(VALU_DEP_2) | instskip(NEXT) | instid1(VALU_DEP_2)
	v_fma_f32 v29, v2, v0, -v29
	v_fmac_f32_e32 v30, v3, v0
	ds_load_2addr_b64 v[0:3], v210 offset0:62 offset1:197
	s_wait_loadcnt_dscnt 0x300
	v_mul_f32_e32 v39, v1, v32
	v_mul_f32_e32 v212, v0, v32
	s_wait_loadcnt 0x2
	v_mul_f32_e32 v32, v2, v34
	s_delay_alu instid0(VALU_DEP_3) | instskip(SKIP_2) | instid1(VALU_DEP_4)
	v_fma_f32 v211, v0, v31, -v39
	v_mul_f32_e32 v0, v3, v34
	v_fmac_f32_e32 v212, v1, v31
	v_fmac_f32_e32 v32, v3, v33
	s_delay_alu instid0(VALU_DEP_3)
	v_fma_f32 v31, v2, v33, -v0
	s_clause 0x1
	global_load_b64 v[33:34], v93, s[2:3] offset:25920
	global_load_b64 v[213:214], v93, s[2:3] offset:24840
	ds_load_2addr_b64 v[0:3], v209 offset0:40 offset1:175
	s_wait_loadcnt_dscnt 0x100
	v_mul_f32_e32 v39, v1, v34
	v_mul_f32_e32 v216, v0, v34
	s_delay_alu instid0(VALU_DEP_2) | instskip(NEXT) | instid1(VALU_DEP_2)
	v_fma_f32 v215, v0, v33, -v39
	v_fmac_f32_e32 v216, v1, v33
	s_clause 0x3
	global_load_b64 v[0:1], v93, s[2:3] offset:27000
	global_load_b64 v[33:34], v93, s[2:3] offset:30240
	;; [unrolled: 1-line block ×4, first 2 shown]
	s_wait_loadcnt 0x3
	v_mul_f32_e32 v39, v3, v1
	v_mul_f32_e32 v220, v2, v1
	s_delay_alu instid0(VALU_DEP_2) | instskip(NEXT) | instid1(VALU_DEP_2)
	v_fma_f32 v219, v2, v0, -v39
	v_fmac_f32_e32 v220, v3, v0
	ds_load_2addr_b64 v[0:3], v46 offset0:14 offset1:149
	s_wait_loadcnt_dscnt 0x0
	v_mul_f32_e32 v39, v3, v222
	v_mul_f32_e32 v224, v2, v222
	;; [unrolled: 1-line block ×3, first 2 shown]
	s_delay_alu instid0(VALU_DEP_3) | instskip(SKIP_1) | instid1(VALU_DEP_4)
	v_fma_f32 v223, v2, v221, -v39
	v_mul_f32_e32 v2, v1, v11
	v_fmac_f32_e32 v224, v3, v221
	s_delay_alu instid0(VALU_DEP_4) | instskip(NEXT) | instid1(VALU_DEP_3)
	v_fmac_f32_e32 v222, v1, v10
	v_fma_f32 v221, v0, v10, -v2
	ds_load_2addr_b64 v[0:3], v47 offset0:28 offset1:163
	s_wait_dscnt 0x0
	v_dual_mov_b32 v47, v40 :: v_dual_mul_f32 v10, v1, v5
	v_mul_f32_e32 v11, v0, v5
	v_mul_f32_e32 v5, v2, v20
	s_delay_alu instid0(VALU_DEP_3) | instskip(SKIP_1) | instid1(VALU_DEP_4)
	v_fma_f32 v10, v0, v4, -v10
	v_mul_f32_e32 v0, v3, v20
	v_fmac_f32_e32 v11, v1, v4
	s_delay_alu instid0(VALU_DEP_4) | instskip(NEXT) | instid1(VALU_DEP_3)
	v_fmac_f32_e32 v5, v3, v19
	v_fma_f32 v4, v2, v19, -v0
	s_clause 0x1
	global_load_b64 v[19:20], v93, s[2:3] offset:9720
	global_load_b64 v[225:226], v93, s[2:3] offset:10800
	ds_load_2addr_b64 v[0:3], v40 offset0:56 offset1:191
	s_wait_loadcnt_dscnt 0x100
	v_dual_mul_f32 v39, v3, v20 :: v_dual_add_nc_u32 v40, 0x5400, v93
	v_mul_f32_e32 v228, v2, v20
	v_mul_f32_e32 v20, v0, v18
	s_delay_alu instid0(VALU_DEP_3) | instskip(SKIP_1) | instid1(VALU_DEP_4)
	v_fma_f32 v227, v2, v19, -v39
	v_mul_f32_e32 v2, v1, v18
	v_fmac_f32_e32 v228, v3, v19
	s_delay_alu instid0(VALU_DEP_4) | instskip(NEXT) | instid1(VALU_DEP_3)
	v_fmac_f32_e32 v20, v1, v17
	v_fma_f32 v19, v0, v17, -v2
	ds_load_2addr_b64 v[0:3], v45 offset0:70 offset1:205
	v_add_nc_u32_e32 v45, 0x3800, v93
	s_wait_loadcnt_dscnt 0x0
	v_mul_f32_e32 v17, v1, v226
	v_mul_f32_e32 v18, v0, v226
	;; [unrolled: 1-line block ×3, first 2 shown]
	s_delay_alu instid0(VALU_DEP_3) | instskip(SKIP_1) | instid1(VALU_DEP_4)
	v_fma_f32 v17, v0, v225, -v17
	v_mul_f32_e32 v0, v3, v24
	v_fmac_f32_e32 v18, v1, v225
	s_delay_alu instid0(VALU_DEP_4) | instskip(NEXT) | instid1(VALU_DEP_3)
	v_fmac_f32_e32 v226, v3, v23
	v_fma_f32 v225, v2, v23, -v0
	global_load_b64 v[23:24], v93, s[2:3] offset:16200
	ds_load_2addr_b64 v[0:3], v45 offset0:98 offset1:233
	s_wait_loadcnt_dscnt 0x0
	v_mul_f32_e32 v39, v3, v24
	v_mul_f32_e32 v230, v2, v24
	;; [unrolled: 1-line block ×3, first 2 shown]
	s_delay_alu instid0(VALU_DEP_3) | instskip(SKIP_1) | instid1(VALU_DEP_4)
	v_fma_f32 v229, v2, v23, -v39
	v_mul_f32_e32 v2, v1, v28
	v_fmac_f32_e32 v230, v3, v23
	s_delay_alu instid0(VALU_DEP_4) | instskip(NEXT) | instid1(VALU_DEP_3)
	v_fmac_f32_e32 v24, v1, v27
	v_fma_f32 v23, v0, v27, -v2
	ds_load_2addr_b64 v[0:3], v95 offset0:112 offset1:247
	s_wait_dscnt 0x0
	v_mul_f32_e32 v27, v1, v16
	v_mul_f32_e32 v28, v0, v16
	;; [unrolled: 1-line block ×3, first 2 shown]
	s_delay_alu instid0(VALU_DEP_3) | instskip(SKIP_1) | instid1(VALU_DEP_4)
	v_fma_f32 v27, v0, v15, -v27
	v_mul_f32_e32 v0, v3, v38
	v_fmac_f32_e32 v28, v1, v15
	s_delay_alu instid0(VALU_DEP_4) | instskip(NEXT) | instid1(VALU_DEP_3)
	v_fmac_f32_e32 v16, v3, v37
	v_fma_f32 v15, v2, v37, -v0
	s_clause 0x1
	global_load_b64 v[37:38], v93, s[2:3] offset:22680
	global_load_b64 v[231:232], v93, s[2:3] offset:23760
	ds_load_2addr_b64 v[0:3], v40 offset0:12 offset1:147
	s_wait_loadcnt_dscnt 0x100
	v_mul_f32_e32 v39, v3, v38
	v_mul_f32_e32 v234, v2, v38
	;; [unrolled: 1-line block ×3, first 2 shown]
	s_delay_alu instid0(VALU_DEP_3) | instskip(SKIP_1) | instid1(VALU_DEP_4)
	v_fma_f32 v233, v2, v37, -v39
	v_mul_f32_e32 v2, v1, v36
	v_fmac_f32_e32 v234, v3, v37
	s_delay_alu instid0(VALU_DEP_4) | instskip(NEXT) | instid1(VALU_DEP_3)
	v_fmac_f32_e32 v38, v1, v35
	v_fma_f32 v37, v0, v35, -v2
	ds_load_2addr_b64 v[0:3], v243 offset0:26 offset1:161
	s_wait_loadcnt_dscnt 0x0
	v_mul_f32_e32 v35, v1, v232
	v_mul_f32_e32 v36, v0, v232
	;; [unrolled: 1-line block ×3, first 2 shown]
	s_delay_alu instid0(VALU_DEP_3) | instskip(SKIP_1) | instid1(VALU_DEP_4)
	v_fma_f32 v35, v0, v231, -v35
	v_mul_f32_e32 v0, v3, v214
	v_fmac_f32_e32 v36, v1, v231
	s_delay_alu instid0(VALU_DEP_4) | instskip(NEXT) | instid1(VALU_DEP_3)
	v_fmac_f32_e32 v232, v3, v213
	v_fma_f32 v231, v2, v213, -v0
	global_load_b64 v[213:214], v93, s[2:3] offset:29160
	ds_load_2addr_b64 v[0:3], v235 offset0:54 offset1:189
	s_mov_b32 s2, 0xc0898b71
	s_mov_b32 s3, 0x3f302e85
	s_wait_loadcnt_dscnt 0x0
	v_mul_f32_e32 v39, v3, v214
	v_mul_f32_e32 v236, v2, v214
	;; [unrolled: 1-line block ×3, first 2 shown]
	s_delay_alu instid0(VALU_DEP_3) | instskip(SKIP_1) | instid1(VALU_DEP_4)
	v_fma_f32 v235, v2, v213, -v39
	v_mul_f32_e32 v2, v1, v218
	v_fmac_f32_e32 v236, v3, v213
	s_delay_alu instid0(VALU_DEP_4) | instskip(NEXT) | instid1(VALU_DEP_3)
	v_fmac_f32_e32 v214, v1, v217
	v_fma_f32 v213, v0, v217, -v2
	ds_load_2addr_b64 v[0:3], v238 offset0:68 offset1:203
	s_wait_dscnt 0x0
	v_mul_f32_e32 v39, v1, v34
	v_mul_f32_e32 v218, v0, v34
	s_delay_alu instid0(VALU_DEP_2) | instskip(SKIP_1) | instid1(VALU_DEP_3)
	v_fma_f32 v217, v0, v33, -v39
	v_mul_f32_e32 v0, v3, v7
	v_dual_fmac_f32 v218, v1, v33 :: v_dual_mul_f32 v1, v2, v7
	s_delay_alu instid0(VALU_DEP_2) | instskip(NEXT) | instid1(VALU_DEP_2)
	v_fma_f32 v0, v2, v6, -v0
	v_dual_fmac_f32 v1, v3, v6 :: v_dual_add_nc_u32 v2, 0xc00, v93
	ds_store_2addr_b64 v2, v[223:224], v[10:11] offset0:21 offset1:156
	v_add_nc_u32_e32 v2, 0x2400, v93
	ds_store_2addr_b64 v2, v[227:228], v[17:18] offset0:63 offset1:198
	v_add_nc_u32_e32 v2, 0x7000, v93
	;; [unrolled: 2-line block ×7, first 2 shown]
	ds_store_2addr_b64 v2, v[219:220], v[213:214] offset0:47 offset1:182
	ds_store_2addr_b64 v237, v[229:230], v[27:28] offset0:105 offset1:240
	;; [unrolled: 1-line block ×7, first 2 shown]
	ds_store_b64 v93, v[0:1] offset:31320
	global_wb scope:SCOPE_SE
	s_wait_dscnt 0x0
	s_barrier_signal -1
	s_barrier_wait -1
	global_inv scope:SCOPE_SE
	ds_load_2addr_b64 v[228:231], v42 offset0:42 offset1:177
	ds_load_2addr_b64 v[232:235], v208 offset0:84 offset1:219
	;; [unrolled: 1-line block ×9, first 2 shown]
	s_wait_dscnt 0x7
	v_sub_f32_e32 v0, v228, v232
	s_wait_dscnt 0x2
	v_dual_sub_f32 v1, v236, v240 :: v_dual_sub_f32 v44, v218, v226
	s_wait_dscnt 0x1
	v_dual_sub_f32 v36, v214, v222 :: v_dual_sub_f32 v35, v215, v223
	s_delay_alu instid0(VALU_DEP_2)
	v_dual_sub_f32 v37, v219, v227 :: v_dual_add_f32 v20, v0, v1
	v_sub_f32_e32 v0, v229, v233
	v_sub_f32_e32 v1, v237, v241
	v_dual_add_f32 v5, v228, v236 :: v_dual_sub_f32 v10, v233, v241
	v_sub_f32_e32 v9, v229, v237
	v_sub_f32_e32 v13, v241, v237
	s_delay_alu instid0(VALU_DEP_4) | instskip(SKIP_2) | instid1(VALU_DEP_2)
	v_dual_add_f32 v21, v0, v1 :: v_dual_sub_f32 v0, v214, v218
	v_dual_sub_f32 v1, v222, v226 :: v_dual_sub_f32 v8, v232, v240
	v_dual_sub_f32 v7, v228, v236 :: v_dual_sub_f32 v16, v227, v223
	v_add_f32_e32 v2, v0, v1
	v_sub_f32_e32 v0, v215, v219
	v_sub_f32_e32 v1, v223, v227
	s_delay_alu instid0(VALU_DEP_1)
	v_dual_add_f32 v3, v0, v1 :: v_dual_add_f32 v0, v219, v227
	s_clause 0x1
	scratch_store_b32 off, v2, off offset:548
	scratch_store_b32 off, v3, off offset:552
	s_wait_dscnt 0x0
	v_fma_f32 v11, -0.5, v0, v211
	v_add_f32_e32 v0, v218, v226
	s_delay_alu instid0(VALU_DEP_1) | instskip(NEXT) | instid1(VALU_DEP_3)
	v_fma_f32 v12, -0.5, v0, v210
	v_fmamk_f32 v0, v36, 0x3f737871, v11
	v_fmac_f32_e32 v11, 0xbf737871, v36
	s_delay_alu instid0(VALU_DEP_3) | instskip(NEXT) | instid1(VALU_DEP_3)
	v_fmamk_f32 v1, v35, 0xbf737871, v12
	v_fmac_f32_e32 v0, 0x3f167918, v44
	s_delay_alu instid0(VALU_DEP_3) | instskip(SKIP_1) | instid1(VALU_DEP_4)
	v_fmac_f32_e32 v11, 0xbf167918, v44
	v_fmac_f32_e32 v12, 0x3f737871, v35
	;; [unrolled: 1-line block ×3, first 2 shown]
	s_delay_alu instid0(VALU_DEP_4) | instskip(NEXT) | instid1(VALU_DEP_3)
	v_fmac_f32_e32 v0, 0x3e9e377a, v3
	v_fmac_f32_e32 v12, 0x3f167918, v37
	s_delay_alu instid0(VALU_DEP_3) | instskip(NEXT) | instid1(VALU_DEP_3)
	v_fmac_f32_e32 v1, 0x3e9e377a, v2
	v_mul_f32_e32 v18, 0xbf167918, v0
	s_delay_alu instid0(VALU_DEP_2) | instskip(NEXT) | instid1(VALU_DEP_2)
	v_mul_f32_e32 v17, 0x3f167918, v1
	v_dual_fmac_f32 v18, 0x3f4f1bbd, v1 :: v_dual_sub_f32 v1, v240, v236
	s_delay_alu instid0(VALU_DEP_2) | instskip(SKIP_1) | instid1(VALU_DEP_1)
	v_fmac_f32_e32 v17, 0x3f4f1bbd, v0
	v_sub_f32_e32 v0, v232, v228
	v_add_f32_e32 v6, v0, v1
	ds_load_2addr_b64 v[0:3], v93 offset1:135
	s_wait_dscnt 0x0
	v_fma_f32 v38, -0.5, v5, v0
	s_delay_alu instid0(VALU_DEP_1) | instskip(SKIP_1) | instid1(VALU_DEP_2)
	v_fmamk_f32 v4, v10, 0x3f737871, v38
	v_fmac_f32_e32 v38, 0xbf737871, v10
	v_fmac_f32_e32 v4, 0xbf167918, v9
	s_delay_alu instid0(VALU_DEP_2) | instskip(NEXT) | instid1(VALU_DEP_2)
	v_fmac_f32_e32 v38, 0x3f167918, v9
	v_fmac_f32_e32 v4, 0x3e9e377a, v6
	s_delay_alu instid0(VALU_DEP_2) | instskip(SKIP_1) | instid1(VALU_DEP_1)
	v_fmac_f32_e32 v38, 0x3e9e377a, v6
	v_sub_f32_e32 v6, v233, v229
	v_add_f32_e32 v14, v6, v13
	v_add_f32_e32 v13, v229, v237
	s_delay_alu instid0(VALU_DEP_1) | instskip(NEXT) | instid1(VALU_DEP_1)
	v_fma_f32 v43, -0.5, v13, v1
	v_dual_sub_f32 v13, v218, v214 :: v_dual_fmamk_f32 v6, v8, 0xbf737871, v43
	v_fmac_f32_e32 v43, 0x3f737871, v8
	s_delay_alu instid0(VALU_DEP_2) | instskip(NEXT) | instid1(VALU_DEP_2)
	v_fmac_f32_e32 v6, 0x3f167918, v7
	v_fmac_f32_e32 v43, 0xbf167918, v7
	s_delay_alu instid0(VALU_DEP_2) | instskip(NEXT) | instid1(VALU_DEP_2)
	v_fmac_f32_e32 v6, 0x3e9e377a, v14
	v_fmac_f32_e32 v43, 0x3e9e377a, v14
	v_sub_f32_e32 v14, v226, v222
	s_delay_alu instid0(VALU_DEP_1) | instskip(SKIP_1) | instid1(VALU_DEP_1)
	v_add_f32_e32 v13, v13, v14
	v_add_f32_e32 v14, v214, v222
	v_fma_f32 v14, -0.5, v14, v210
	s_delay_alu instid0(VALU_DEP_1) | instskip(SKIP_1) | instid1(VALU_DEP_2)
	v_fmamk_f32 v15, v37, 0x3f737871, v14
	v_fmac_f32_e32 v14, 0xbf737871, v37
	v_fmac_f32_e32 v15, 0xbf167918, v35
	s_delay_alu instid0(VALU_DEP_2) | instskip(SKIP_1) | instid1(VALU_DEP_3)
	v_fmac_f32_e32 v14, 0x3f167918, v35
	v_sub_f32_e32 v35, v243, v239
	v_fmac_f32_e32 v15, 0x3e9e377a, v13
	s_delay_alu instid0(VALU_DEP_3) | instskip(NEXT) | instid1(VALU_DEP_1)
	v_dual_fmac_f32 v14, 0x3e9e377a, v13 :: v_dual_sub_f32 v13, v219, v215
	v_dual_add_f32 v13, v13, v16 :: v_dual_add_f32 v16, v215, v223
	s_delay_alu instid0(VALU_DEP_1) | instskip(NEXT) | instid1(VALU_DEP_1)
	v_fma_f32 v16, -0.5, v16, v211
	v_fmamk_f32 v19, v44, 0xbf737871, v16
	v_fmac_f32_e32 v16, 0x3f737871, v44
	s_delay_alu instid0(VALU_DEP_2) | instskip(NEXT) | instid1(VALU_DEP_2)
	v_fmac_f32_e32 v19, 0x3f167918, v36
	v_fmac_f32_e32 v16, 0xbf167918, v36
	s_delay_alu instid0(VALU_DEP_2) | instskip(NEXT) | instid1(VALU_DEP_2)
	v_fmac_f32_e32 v19, 0x3e9e377a, v13
	v_dual_fmac_f32 v16, 0x3e9e377a, v13 :: v_dual_add_f32 v13, v0, v228
	s_delay_alu instid0(VALU_DEP_2) | instskip(NEXT) | instid1(VALU_DEP_2)
	v_mul_f32_e32 v94, 0x3e9e377a, v19
	v_mul_f32_e32 v95, 0xbf737871, v16
	;; [unrolled: 1-line block ×3, first 2 shown]
	s_delay_alu instid0(VALU_DEP_4) | instskip(NEXT) | instid1(VALU_DEP_3)
	v_add_f32_e32 v13, v13, v232
	v_fmac_f32_e32 v95, 0xbe9e377a, v14
	s_delay_alu instid0(VALU_DEP_3) | instskip(NEXT) | instid1(VALU_DEP_3)
	v_fmac_f32_e32 v5, 0x3f737871, v14
	v_dual_add_f32 v14, v210, v214 :: v_dual_add_f32 v13, v13, v240
	s_delay_alu instid0(VALU_DEP_2) | instskip(NEXT) | instid1(VALU_DEP_2)
	v_dual_add_f32 v33, v38, v95 :: v_dual_add_f32 v34, v43, v5
	v_dual_add_f32 v14, v14, v218 :: v_dual_add_f32 v45, v13, v236
	v_dual_add_f32 v13, v232, v240 :: v_dual_add_nc_u32 v232, 0x1000, v93
	v_add_nc_u32_e32 v218, 0x4000, v93
	s_delay_alu instid0(VALU_DEP_3) | instskip(SKIP_1) | instid1(VALU_DEP_4)
	v_add_f32_e32 v14, v14, v226
	v_mov_b32_e32 v236, v21
	v_fma_f32 v0, -0.5, v13, v0
	v_add_f32_e32 v13, v1, v229
	ds_load_2addr_b64 v[39:42], v232 offset0:28 offset1:163
	v_mul_f32_e32 v92, 0xbf737871, v19
	v_add_f32_e32 v210, v14, v222
	v_add_nc_u32_e32 v222, 0x5c00, v93
	v_add_f32_e32 v13, v13, v233
	s_delay_alu instid0(VALU_DEP_3)
	v_add_f32_e32 v226, v45, v210
	ds_load_2addr_b64 v[23:26], v222 offset0:26 offset1:161
	v_dual_add_f32 v16, v233, v241 :: v_dual_mov_b32 v233, v20
	ds_load_2addr_b64 v[19:22], v218 offset0:112 offset1:247
	v_fmac_f32_e32 v92, 0x3e9e377a, v15
	v_fmac_f32_e32 v94, 0x3f737871, v15
	v_add_f32_e32 v15, v211, v215
	v_add_f32_e32 v13, v13, v241
	v_fma_f32 v1, -0.5, v16, v1
	s_delay_alu instid0(VALU_DEP_4) | instskip(NEXT) | instid1(VALU_DEP_4)
	v_dual_add_f32 v31, v4, v92 :: v_dual_add_f32 v32, v6, v94
	v_add_f32_e32 v15, v15, v219
	v_add_nc_u32_e32 v219, 0x2800, v93
	v_add_f32_e32 v211, v13, v237
	v_fmamk_f32 v47, v7, 0x3f737871, v1
	v_fmac_f32_e32 v1, 0xbf737871, v7
	v_add_f32_e32 v15, v15, v227
	v_sub_f32_e32 v7, v234, v230
	s_delay_alu instid0(VALU_DEP_4) | instskip(NEXT) | instid1(VALU_DEP_3)
	v_fmac_f32_e32 v47, 0x3f167918, v8
	v_dual_fmac_f32 v1, 0xbf167918, v8 :: v_dual_add_f32 v214, v15, v223
	v_add_nc_u32_e32 v223, 0x7400, v93
	ds_load_2addr_b64 v[13:16], v219 offset0:70 offset1:205
	v_fmamk_f32 v46, v9, 0xbf737871, v0
	v_fmac_f32_e32 v47, 0x3e9e377a, v236
	v_add_f32_e32 v227, v211, v214
	ds_load_2addr_b64 v[27:30], v223 offset0:68 offset1:203
	global_wb scope:SCOPE_SE
	s_wait_storecnt_dscnt 0x0
	s_barrier_signal -1
	s_barrier_wait -1
	global_inv scope:SCOPE_SE
	scratch_load_b32 v215, off, off offset:248 th:TH_LOAD_LU ; 4-byte Folded Reload
	v_dual_fmac_f32 v46, 0xbf167918, v10 :: v_dual_add_f32 v229, v47, v17
	v_fmac_f32_e32 v0, 0x3f737871, v9
	v_dual_fmac_f32 v1, 0x3e9e377a, v236 :: v_dual_sub_f32 v8, v38, v95
	s_delay_alu instid0(VALU_DEP_3) | instskip(NEXT) | instid1(VALU_DEP_3)
	v_fmac_f32_e32 v46, 0x3e9e377a, v233
	v_dual_sub_f32 v9, v43, v5 :: v_dual_fmac_f32 v0, 0x3f167918, v10
	s_delay_alu instid0(VALU_DEP_2)
	v_dual_sub_f32 v5, v235, v243 :: v_dual_add_f32 v228, v46, v18
	s_wait_loadcnt 0x0
	ds_store_b128 v215, v[226:229]
	ds_store_b128 v215, v[31:34] offset:16
	v_sub_f32_e32 v228, v4, v92
	scratch_load_b32 v4, off, off offset:552 th:TH_LOAD_LU ; 4-byte Folded Reload
	v_dual_sub_f32 v229, v6, v94 :: v_dual_fmac_f32 v0, 0x3e9e377a, v233
	v_sub_f32_e32 v33, v45, v210
	v_sub_f32_e32 v34, v211, v214
	v_dual_sub_f32 v226, v46, v18 :: v_dual_sub_f32 v227, v47, v17
	v_dual_sub_f32 v18, v238, v242 :: v_dual_add_f32 v17, v231, v239
	v_sub_f32_e32 v46, v14, v28
	v_dual_sub_f32 v44, v13, v27 :: v_dual_sub_f32 v47, v20, v24
	v_sub_f32_e32 v45, v19, v23
	s_wait_loadcnt 0x0
	v_fmac_f32_e32 v11, 0x3e9e377a, v4
	scratch_load_b32 v4, off, off offset:548 th:TH_LOAD_LU ; 4-byte Folded Reload
	v_mul_f32_e32 v6, 0xbf4f1bbd, v11
	s_wait_loadcnt 0x0
	v_fmac_f32_e32 v12, 0x3e9e377a, v4
	v_mul_f32_e32 v4, 0xbf167918, v11
	s_delay_alu instid0(VALU_DEP_2) | instskip(NEXT) | instid1(VALU_DEP_2)
	v_fmac_f32_e32 v6, 0x3f167918, v12
	v_fmac_f32_e32 v4, 0xbf4f1bbd, v12
	v_sub_f32_e32 v12, v234, v242
	s_delay_alu instid0(VALU_DEP_2)
	v_dual_add_f32 v32, v1, v6 :: v_dual_add_f32 v31, v0, v4
	v_dual_sub_f32 v10, v0, v4 :: v_dual_sub_f32 v11, v1, v6
	ds_store_b128 v215, v[31:34] offset:32
	ds_store_b128 v215, v[226:229] offset:48
	v_sub_f32_e32 v6, v230, v234
	ds_store_b128 v215, v[8:11] offset:64
	v_sub_f32_e32 v9, v231, v235
	v_dual_sub_f32 v34, v239, v243 :: v_dual_add_f32 v11, v230, v238
	v_add_f32_e32 v6, v6, v18
	v_sub_f32_e32 v18, v27, v23
	v_add_f32_e32 v8, v235, v243
	s_delay_alu instid0(VALU_DEP_4) | instskip(SKIP_4) | instid1(VALU_DEP_4)
	v_add_f32_e32 v34, v9, v34
	v_sub_f32_e32 v9, v13, v19
	v_fma_f32 v95, -0.5, v11, v2
	v_sub_f32_e32 v31, v231, v239
	v_sub_f32_e32 v33, v242, v238
	v_dual_add_f32 v1, v3, v231 :: v_dual_add_f32 v36, v9, v18
	v_sub_f32_e32 v9, v14, v20
	v_sub_f32_e32 v18, v28, v24
	v_fmamk_f32 v210, v5, 0x3f737871, v95
	v_dual_fmac_f32 v95, 0xbf737871, v5 :: v_dual_sub_f32 v10, v235, v231
	v_add_f32_e32 v7, v7, v33
	s_delay_alu instid0(VALU_DEP_4) | instskip(SKIP_4) | instid1(VALU_DEP_4)
	v_add_f32_e32 v37, v9, v18
	v_add_f32_e32 v9, v20, v24
	v_fma_f32 v33, -0.5, v8, v3
	v_dual_fmac_f32 v3, -0.5, v17 :: v_dual_fmac_f32 v210, 0xbf167918, v31
	v_fmac_f32_e32 v95, 0x3f167918, v31
	v_fma_f32 v38, -0.5, v9, v40
	v_dual_add_f32 v9, v19, v23 :: v_dual_sub_f32 v32, v230, v238
	s_delay_alu instid0(VALU_DEP_4) | instskip(NEXT) | instid1(VALU_DEP_4)
	v_fmac_f32_e32 v210, 0x3e9e377a, v7
	v_fmac_f32_e32 v95, 0x3e9e377a, v7
	v_add_f32_e32 v7, v10, v35
	s_delay_alu instid0(VALU_DEP_4) | instskip(SKIP_3) | instid1(VALU_DEP_4)
	v_fma_f32 v43, -0.5, v9, v39
	v_fmamk_f32 v35, v12, 0xbf737871, v3
	v_fmac_f32_e32 v3, 0x3f737871, v12
	v_dual_fmamk_f32 v9, v44, 0x3f737871, v38 :: v_dual_sub_f32 v8, v23, v27
	v_fmamk_f32 v18, v46, 0xbf737871, v43
	s_delay_alu instid0(VALU_DEP_4) | instskip(NEXT) | instid1(VALU_DEP_4)
	v_fmac_f32_e32 v35, 0x3f167918, v32
	v_fmac_f32_e32 v3, 0xbf167918, v32
	s_delay_alu instid0(VALU_DEP_4) | instskip(NEXT) | instid1(VALU_DEP_4)
	v_dual_fmac_f32 v9, 0x3f167918, v45 :: v_dual_sub_f32 v10, v24, v28
	v_fmac_f32_e32 v18, 0xbf167918, v47
	s_delay_alu instid0(VALU_DEP_4) | instskip(NEXT) | instid1(VALU_DEP_4)
	v_fmac_f32_e32 v35, 0x3e9e377a, v7
	v_fmac_f32_e32 v3, 0x3e9e377a, v7
	v_sub_f32_e32 v7, v19, v13
	s_delay_alu instid0(VALU_DEP_4) | instskip(SKIP_1) | instid1(VALU_DEP_3)
	v_dual_fmac_f32 v9, 0x3e9e377a, v37 :: v_dual_fmac_f32 v18, 0x3e9e377a, v36
	v_dual_add_f32 v4, v234, v242 :: v_dual_add_f32 v1, v1, v235
	v_dual_add_f32 v7, v7, v8 :: v_dual_add_f32 v8, v13, v27
	s_delay_alu instid0(VALU_DEP_3) | instskip(NEXT) | instid1(VALU_DEP_4)
	v_mul_f32_e32 v94, 0x3f167918, v18
	v_mul_f32_e32 v92, 0xbf167918, v9
	v_fmac_f32_e32 v43, 0x3f737871, v46
	v_add_f32_e32 v1, v1, v243
	v_fma_f32 v8, -0.5, v8, v39
	v_fmac_f32_e32 v94, 0x3f4f1bbd, v9
	v_fmac_f32_e32 v38, 0xbf737871, v44
	;; [unrolled: 1-line block ×3, first 2 shown]
	v_add_f32_e32 v1, v1, v239
	v_fmamk_f32 v9, v47, 0x3f737871, v8
	v_fmac_f32_e32 v8, 0xbf737871, v47
	v_add_nc_u32_e32 v47, 0x5400, v93
	v_fmac_f32_e32 v92, 0x3f4f1bbd, v18
	s_delay_alu instid0(VALU_DEP_4) | instskip(NEXT) | instid1(VALU_DEP_4)
	v_dual_fmac_f32 v38, 0xbf167918, v45 :: v_dual_fmac_f32 v9, 0xbf167918, v46
	v_fmac_f32_e32 v8, 0x3f167918, v46
	v_dual_fmac_f32 v43, 0x3e9e377a, v36 :: v_dual_sub_f32 v36, v29, v25
	s_delay_alu instid0(VALU_DEP_3) | instskip(NEXT) | instid1(VALU_DEP_3)
	v_dual_fmac_f32 v38, 0x3e9e377a, v37 :: v_dual_fmac_f32 v9, 0x3e9e377a, v7
	v_dual_fmac_f32 v8, 0x3e9e377a, v7 :: v_dual_sub_f32 v7, v20, v14
	v_dual_sub_f32 v37, v30, v26 :: v_dual_add_nc_u32 v46, 0x6c00, v93
	s_delay_alu instid0(VALU_DEP_2) | instskip(NEXT) | instid1(VALU_DEP_1)
	v_dual_add_f32 v7, v7, v10 :: v_dual_add_f32 v10, v14, v28
	v_fma_f32 v10, -0.5, v10, v40
	s_delay_alu instid0(VALU_DEP_1) | instskip(SKIP_2) | instid1(VALU_DEP_3)
	v_fmamk_f32 v11, v45, 0xbf737871, v10
	v_fmac_f32_e32 v10, 0x3f737871, v45
	v_add_nc_u32_e32 v45, 0x3800, v93
	v_fmac_f32_e32 v11, 0x3f167918, v44
	s_delay_alu instid0(VALU_DEP_3) | instskip(NEXT) | instid1(VALU_DEP_2)
	v_fmac_f32_e32 v10, 0xbf167918, v44
	v_fmac_f32_e32 v11, 0x3e9e377a, v7
	s_delay_alu instid0(VALU_DEP_2) | instskip(NEXT) | instid1(VALU_DEP_1)
	v_fmac_f32_e32 v10, 0x3e9e377a, v7
	v_dual_mul_f32 v7, 0xbf737871, v11 :: v_dual_mul_f32 v214, 0xbf737871, v10
	v_mul_f32_e32 v215, 0xbe9e377a, v10
	v_mul_f32_e32 v211, 0x3e9e377a, v11
	s_delay_alu instid0(VALU_DEP_3) | instskip(NEXT) | instid1(VALU_DEP_4)
	v_fmac_f32_e32 v7, 0x3e9e377a, v9
	v_fmac_f32_e32 v214, 0xbe9e377a, v8
	s_delay_alu instid0(VALU_DEP_4) | instskip(SKIP_3) | instid1(VALU_DEP_4)
	v_dual_fmac_f32 v215, 0x3f737871, v8 :: v_dual_add_f32 v8, v40, v14
	v_fmamk_f32 v14, v32, 0x3f737871, v33
	v_fmac_f32_e32 v33, 0xbf737871, v32
	v_fmac_f32_e32 v211, 0x3f737871, v9
	v_dual_add_f32 v17, v210, v7 :: v_dual_add_f32 v8, v8, v20
	s_delay_alu instid0(VALU_DEP_4) | instskip(NEXT) | instid1(VALU_DEP_4)
	v_fmac_f32_e32 v14, 0x3f167918, v12
	v_fmac_f32_e32 v33, 0xbf167918, v12
	v_sub_f32_e32 v12, v212, v220
	v_add_f32_e32 v0, v2, v230
	v_add_f32_e32 v8, v8, v24
	scratch_load_b32 v24, off, off offset:496 th:TH_LOAD_LU ; 4-byte Folded Reload
	v_fma_f32 v2, -0.5, v4, v2
	v_add_f32_e32 v4, v39, v13
	v_add_f32_e32 v0, v0, v234
	v_fmac_f32_e32 v14, 0x3e9e377a, v34
	v_add_f32_e32 v18, v35, v211
	s_delay_alu instid0(VALU_DEP_4) | instskip(NEXT) | instid1(VALU_DEP_4)
	v_dual_fmamk_f32 v13, v31, 0xbf737871, v2 :: v_dual_add_f32 v4, v4, v19
	v_add_f32_e32 v0, v0, v242
	s_delay_alu instid0(VALU_DEP_4) | instskip(NEXT) | instid1(VALU_DEP_3)
	v_dual_add_f32 v11, v14, v94 :: v_dual_fmac_f32 v2, 0x3f737871, v31
	v_dual_fmac_f32 v13, 0xbf167918, v5 :: v_dual_add_f32 v4, v4, v23
	s_delay_alu instid0(VALU_DEP_3) | instskip(SKIP_2) | instid1(VALU_DEP_4)
	v_add_f32_e32 v0, v0, v238
	v_add_f32_e32 v23, v8, v28
	;; [unrolled: 1-line block ×3, first 2 shown]
	v_dual_fmac_f32 v13, 0x3e9e377a, v6 :: v_dual_add_f32 v4, v4, v27
	v_add_f32_e32 v20, v3, v215
	s_delay_alu instid0(VALU_DEP_4) | instskip(NEXT) | instid1(VALU_DEP_3)
	v_dual_add_f32 v9, v1, v23 :: v_dual_fmac_f32 v2, 0x3f167918, v5
	v_add_f32_e32 v10, v13, v92
	s_delay_alu instid0(VALU_DEP_4)
	v_add_f32_e32 v8, v0, v4
	s_wait_loadcnt 0x0
	ds_store_b128 v24, v[8:11]
	ds_store_b128 v24, v[17:20] offset:16
	v_sub_f32_e32 v10, v0, v4
	v_mul_f32_e32 v4, 0xbf167918, v38
	v_mul_f32_e32 v5, 0xbf4f1bbd, v38
	v_fmac_f32_e32 v2, 0x3e9e377a, v6
	v_fmac_f32_e32 v33, 0x3e9e377a, v34
	v_sub_f32_e32 v11, v1, v23
	v_fmac_f32_e32 v4, 0xbf4f1bbd, v43
	v_fmac_f32_e32 v5, 0x3f167918, v43
	v_sub_f32_e32 v17, v13, v92
	v_sub_f32_e32 v19, v210, v7
	;; [unrolled: 1-line block ×3, first 2 shown]
	s_delay_alu instid0(VALU_DEP_4)
	v_dual_add_f32 v8, v2, v4 :: v_dual_add_f32 v9, v33, v5
	v_sub_f32_e32 v20, v35, v211
	ds_store_b128 v24, v[8:11] offset:32
	ds_store_b128 v24, v[17:20] offset:48
	scratch_load_b32 v39, off, off offset:444 th:TH_LOAD_LU ; 4-byte Folded Reload
	v_sub_f32_e32 v1, v3, v215
	v_sub_f32_e32 v0, v95, v214
	v_dual_sub_f32 v2, v2, v4 :: v_dual_sub_f32 v3, v33, v5
	v_sub_f32_e32 v27, v22, v26
	v_add_f32_e32 v32, v22, v26
	v_sub_f32_e32 v33, v16, v22
	v_sub_f32_e32 v34, v16, v30
	ds_store_b128 v24, v[0:3] offset:64
	v_dual_add_f32 v1, v209, v213 :: v_dual_add_f32 v0, v208, v212
	v_add_f32_e32 v24, v21, v25
	v_sub_f32_e32 v6, v213, v217
	v_sub_f32_e32 v18, v221, v225
	s_delay_alu instid0(VALU_DEP_4) | instskip(SKIP_2) | instid1(VALU_DEP_3)
	v_dual_add_f32 v1, v1, v217 :: v_dual_add_f32 v0, v0, v216
	v_fma_f32 v32, -0.5, v32, v42
	v_sub_f32_e32 v3, v212, v216
	v_dual_sub_f32 v14, v220, v224 :: v_dual_add_f32 v1, v1, v225
	s_delay_alu instid0(VALU_DEP_4) | instskip(SKIP_2) | instid1(VALU_DEP_4)
	v_add_f32_e32 v0, v0, v224
	v_dual_sub_f32 v28, v15, v21 :: v_dual_sub_f32 v31, v21, v15
	v_add_f32_e32 v35, v15, v29
	v_add_f32_e32 v23, v1, v221
	;; [unrolled: 1-line block ×4, first 2 shown]
	v_dual_add_f32 v0, v41, v15 :: v_dual_sub_f32 v15, v15, v29
	v_add_f32_e32 v18, v6, v18
	s_delay_alu instid0(VALU_DEP_4) | instskip(SKIP_1) | instid1(VALU_DEP_4)
	v_dual_add_f32 v1, v1, v22 :: v_dual_sub_f32 v22, v22, v16
	v_add_f32_e32 v16, v16, v30
	v_add_f32_e32 v0, v0, v21
	v_dual_sub_f32 v21, v21, v25 :: v_dual_add_f32 v14, v3, v14
	v_add_f32_e32 v28, v28, v36
	s_delay_alu instid0(VALU_DEP_4)
	v_fmac_f32_e32 v42, -0.5, v16
	v_fma_f32 v16, -0.5, v24, v41
	v_fmamk_f32 v3, v15, 0x3f737871, v32
	v_add_f32_e32 v11, v212, v220
	v_add_f32_e32 v33, v33, v37
	v_sub_f32_e32 v8, v217, v225
	v_fmamk_f32 v6, v34, 0xbf737871, v16
	v_dual_fmac_f32 v3, 0x3f167918, v21 :: v_dual_sub_f32 v4, v216, v212
	v_add_f32_e32 v5, v217, v225
	s_delay_alu instid0(VALU_DEP_3) | instskip(SKIP_3) | instid1(VALU_DEP_4)
	v_dual_add_f32 v13, v213, v221 :: v_dual_fmac_f32 v6, 0xbf167918, v27
	v_sub_f32_e32 v17, v224, v220
	v_dual_add_f32 v0, v0, v25 :: v_dual_add_f32 v1, v1, v26
	v_sub_f32_e32 v26, v26, v30
	v_dual_fmac_f32 v6, 0x3e9e377a, v28 :: v_dual_fmac_f32 v3, 0x3e9e377a, v33
	v_fma_f32 v11, -0.5, v11, v208
	v_sub_f32_e32 v10, v213, v221
	s_delay_alu instid0(VALU_DEP_3) | instskip(SKIP_3) | instid1(VALU_DEP_4)
	v_dual_sub_f32 v25, v25, v29 :: v_dual_mul_f32 v36, 0x3f167918, v6
	v_dual_add_f32 v29, v0, v29 :: v_dual_add_f32 v0, v22, v26
	v_fma_f32 v22, -0.5, v35, v41
	v_mul_f32_e32 v35, 0xbf167918, v3
	v_dual_fmac_f32 v36, 0x3f4f1bbd, v3 :: v_dual_add_f32 v3, v4, v17
	v_fma_f32 v17, -0.5, v5, v209
	v_fmac_f32_e32 v209, -0.5, v13
	v_fmamk_f32 v13, v8, 0x3f737871, v11
	v_fmac_f32_e32 v11, 0xbf737871, v8
	v_sub_f32_e32 v9, v216, v224
	v_sub_f32_e32 v7, v217, v213
	;; [unrolled: 1-line block ×3, first 2 shown]
	v_add_f32_e32 v30, v1, v30
	v_fmamk_f32 v1, v21, 0xbf737871, v42
	v_fmac_f32_e32 v42, 0x3f737871, v21
	v_fmac_f32_e32 v13, 0xbf167918, v10
	v_dual_fmac_f32 v11, 0x3f167918, v10 :: v_dual_add_f32 v2, v216, v224
	s_delay_alu instid0(VALU_DEP_4) | instskip(NEXT) | instid1(VALU_DEP_4)
	v_fmac_f32_e32 v1, 0x3f167918, v15
	v_fmac_f32_e32 v42, 0xbf167918, v15
	s_delay_alu instid0(VALU_DEP_4) | instskip(NEXT) | instid1(VALU_DEP_4)
	v_fmac_f32_e32 v13, 0x3e9e377a, v3
	v_fmac_f32_e32 v11, 0x3e9e377a, v3
	v_add_f32_e32 v3, v7, v19
	v_fmamk_f32 v19, v9, 0xbf737871, v209
	v_fmac_f32_e32 v209, 0x3f737871, v9
	v_fmac_f32_e32 v42, 0x3e9e377a, v0
	;; [unrolled: 1-line block ×3, first 2 shown]
	v_fmamk_f32 v0, v27, 0x3f737871, v22
	v_fmac_f32_e32 v19, 0x3f167918, v12
	v_fmac_f32_e32 v209, 0xbf167918, v12
	;; [unrolled: 1-line block ×3, first 2 shown]
	v_mul_f32_e32 v24, 0xbf737871, v42
	v_mul_f32_e32 v26, 0xbe9e377a, v42
	v_fmac_f32_e32 v19, 0x3e9e377a, v3
	v_fmac_f32_e32 v209, 0x3e9e377a, v3
	v_dual_add_f32 v3, v31, v25 :: v_dual_fmac_f32 v22, 0x3f167918, v34
	v_fmac_f32_e32 v32, 0xbf737871, v15
	v_fmamk_f32 v38, v12, 0x3f737871, v17
	v_fmac_f32_e32 v16, 0x3f737871, v34
	v_fmac_f32_e32 v0, 0xbf167918, v34
	v_fmac_f32_e32 v22, 0x3e9e377a, v3
	v_fmac_f32_e32 v32, 0xbf167918, v21
	v_fmac_f32_e32 v38, 0x3f167918, v9
	v_fmac_f32_e32 v17, 0xbf737871, v12
	v_fmac_f32_e32 v16, 0x3f167918, v27
	v_fmac_f32_e32 v24, 0xbe9e377a, v22
	v_fmac_f32_e32 v26, 0x3f737871, v22
	v_fma_f32 v22, -0.5, v2, v208
	v_fmac_f32_e32 v32, 0x3e9e377a, v33
	v_fmac_f32_e32 v0, 0x3e9e377a, v3
	v_mul_f32_e32 v25, 0xbf737871, v1
	v_mul_f32_e32 v31, 0x3e9e377a, v1
	v_fmamk_f32 v37, v10, 0xbf737871, v22
	v_fmac_f32_e32 v22, 0x3f737871, v10
	v_fmac_f32_e32 v35, 0x3f4f1bbd, v6
	;; [unrolled: 1-line block ×7, first 2 shown]
	v_mul_f32_e32 v8, 0xbf167918, v32
	v_mul_f32_e32 v9, 0xbf4f1bbd, v32
	v_fmac_f32_e32 v37, 0x3e9e377a, v14
	v_fmac_f32_e32 v25, 0x3e9e377a, v0
	v_dual_fmac_f32 v31, 0x3f737871, v0 :: v_dual_add_f32 v0, v20, v29
	s_delay_alu instid0(VALU_DEP_3)
	v_dual_add_f32 v1, v23, v30 :: v_dual_add_f32 v2, v37, v35
	v_dual_add_f32 v3, v38, v36 :: v_dual_fmac_f32 v22, 0x3e9e377a, v14
	v_fmac_f32_e32 v17, 0x3e9e377a, v18
	v_fmac_f32_e32 v8, 0xbf4f1bbd, v16
	v_dual_fmac_f32 v9, 0x3f167918, v16 :: v_dual_add_f32 v4, v13, v25
	v_add_f32_e32 v6, v11, v24
	v_add_f32_e32 v5, v19, v31
	;; [unrolled: 1-line block ×3, first 2 shown]
	s_wait_loadcnt 0x0
	ds_store_b128 v39, v[0:3]
	ds_store_b128 v39, v[4:7] offset:16
	v_dual_sub_f32 v2, v20, v29 :: v_dual_sub_f32 v3, v23, v30
	v_dual_add_f32 v0, v22, v8 :: v_dual_add_f32 v1, v17, v9
	v_sub_f32_e32 v4, v37, v35
	v_dual_sub_f32 v6, v13, v25 :: v_dual_sub_f32 v5, v38, v36
	v_sub_f32_e32 v7, v19, v31
	ds_store_b128 v39, v[0:3] offset:32
	ds_store_b128 v39, v[4:7] offset:48
	v_dual_sub_f32 v1, v209, v26 :: v_dual_sub_f32 v0, v11, v24
	v_dual_sub_f32 v2, v22, v8 :: v_dual_sub_f32 v3, v17, v9
	v_add_nc_u32_e32 v220, 0x1800, v93
	v_add_nc_u32_e32 v42, 0x3000, v93
	;; [unrolled: 1-line block ×4, first 2 shown]
	ds_store_b128 v39, v[0:3] offset:64
	global_wb scope:SCOPE_SE
	s_wait_dscnt 0x0
	s_barrier_signal -1
	s_barrier_wait -1
	global_inv scope:SCOPE_SE
	scratch_load_b128 v[8:11], off, off offset:428 th:TH_LOAD_LU ; 16-byte Folded Reload
	ds_load_2addr_b64 v[2:5], v220 offset0:42 offset1:177
	scratch_load_b128 v[15:18], off, off offset:396 th:TH_LOAD_LU ; 16-byte Folded Reload
	v_add_nc_u32_e32 v224, 0x2000, v93
	ds_load_2addr_b64 v[32:35], v93 offset1:135
	s_wait_loadcnt_dscnt 0x101
	v_mul_f32_e32 v1, v9, v3
	v_mul_f32_e32 v0, v9, v2
	s_delay_alu instid0(VALU_DEP_2) | instskip(NEXT) | instid1(VALU_DEP_2)
	v_fmac_f32_e32 v1, v8, v2
	v_fma_f32 v0, v8, v3, -v0
	ds_load_2addr_b64 v[6:9], v42 offset0:84 offset1:219
	s_wait_dscnt 0x0
	v_mul_f32_e32 v3, v11, v7
	v_mul_f32_e32 v2, v11, v6
	s_delay_alu instid0(VALU_DEP_2) | instskip(NEXT) | instid1(VALU_DEP_2)
	v_fmac_f32_e32 v3, v10, v6
	v_fma_f32 v2, v10, v7, -v2
	scratch_load_b128 v[10:13], off, off offset:380 th:TH_LOAD_LU ; 16-byte Folded Reload
	s_wait_loadcnt 0x0
	v_mul_f32_e32 v211, v11, v5
	v_mul_f32_e32 v213, v13, v9
	s_delay_alu instid0(VALU_DEP_2) | instskip(SKIP_1) | instid1(VALU_DEP_3)
	v_fmac_f32_e32 v211, v10, v4
	v_mul_f32_e32 v4, v11, v4
	v_fmac_f32_e32 v213, v12, v8
	s_delay_alu instid0(VALU_DEP_2) | instskip(SKIP_1) | instid1(VALU_DEP_1)
	v_fma_f32 v210, v10, v5, -v4
	v_mul_f32_e32 v4, v13, v8
	v_fma_f32 v212, v12, v9, -v4
	ds_load_2addr_b64 v[6:9], v221 offset0:62 offset1:197
	s_wait_dscnt 0x0
	v_mul_f32_e32 v5, v16, v7
	v_mul_f32_e32 v4, v16, v6
	s_delay_alu instid0(VALU_DEP_2) | instskip(NEXT) | instid1(VALU_DEP_2)
	v_fmac_f32_e32 v5, v15, v6
	v_fma_f32 v4, v15, v7, -v4
	ds_load_2addr_b64 v[13:16], v43 offset0:40 offset1:175
	v_sub_f32_e32 v26, v3, v5
	v_sub_f32_e32 v24, v2, v4
	s_wait_dscnt 0x0
	v_mul_f32_e32 v7, v18, v14
	v_mul_f32_e32 v6, v18, v13
	s_delay_alu instid0(VALU_DEP_2)
	v_fmac_f32_e32 v7, v17, v13
	scratch_load_b128 v[10:13], off, off offset:364 th:TH_LOAD_LU ; 16-byte Folded Reload
	v_fma_f32 v6, v17, v14, -v6
	s_wait_loadcnt 0x0
	v_dual_sub_f32 v25, v1, v7 :: v_dual_mul_f32 v214, v11, v9
	v_mul_f32_e32 v216, v13, v16
	s_delay_alu instid0(VALU_DEP_2) | instskip(SKIP_1) | instid1(VALU_DEP_3)
	v_fmac_f32_e32 v214, v10, v8
	v_mul_f32_e32 v8, v11, v8
	v_fmac_f32_e32 v216, v12, v15
	s_delay_alu instid0(VALU_DEP_2) | instskip(SKIP_1) | instid1(VALU_DEP_1)
	v_fma_f32 v215, v10, v9, -v8
	v_mul_f32_e32 v8, v13, v15
	v_fma_f32 v217, v12, v16, -v8
	ds_load_2addr_b64 v[8:11], v224 offset0:56 offset1:191
	ds_load_2addr_b64 v[16:19], v45 offset0:98 offset1:233
	s_wait_dscnt 0x1
	v_mul_f32_e32 v208, v205, v9
	s_wait_dscnt 0x0
	s_delay_alu instid0(VALU_DEP_1) | instskip(SKIP_1) | instid1(VALU_DEP_2)
	v_dual_mul_f32 v209, v207, v17 :: v_dual_fmac_f32 v208, v204, v8
	v_mul_f32_e32 v8, v205, v8
	v_fmac_f32_e32 v209, v206, v16
	s_delay_alu instid0(VALU_DEP_2) | instskip(SKIP_2) | instid1(VALU_DEP_2)
	v_fma_f32 v15, v204, v9, -v8
	v_mul_f32_e32 v8, v207, v16
	v_mul_f32_e32 v204, v201, v11
	v_fma_f32 v205, v206, v17, -v8
	v_mul_f32_e32 v8, v201, v10
	s_delay_alu instid0(VALU_DEP_3) | instskip(NEXT) | instid1(VALU_DEP_2)
	v_dual_fmac_f32 v204, v200, v10 :: v_dual_mul_f32 v201, v203, v19
	v_fma_f32 v14, v200, v11, -v8
	v_mul_f32_e32 v8, v203, v18
	s_delay_alu instid0(VALU_DEP_3) | instskip(NEXT) | instid1(VALU_DEP_2)
	v_fmac_f32_e32 v201, v202, v18
	v_fma_f32 v200, v202, v19, -v8
	ds_load_2addr_b64 v[8:11], v47 offset0:12 offset1:147
	ds_load_2addr_b64 v[16:19], v46 offset0:54 offset1:189
	s_wait_dscnt 0x1
	v_mul_f32_e32 v203, v197, v9
	s_wait_dscnt 0x0
	s_delay_alu instid0(VALU_DEP_1) | instskip(SKIP_1) | instid1(VALU_DEP_2)
	v_dual_mul_f32 v206, v199, v17 :: v_dual_fmac_f32 v203, v196, v8
	v_mul_f32_e32 v8, v197, v8
	v_fmac_f32_e32 v206, v198, v16
	s_delay_alu instid0(VALU_DEP_2) | instskip(SKIP_2) | instid1(VALU_DEP_2)
	v_fma_f32 v202, v196, v9, -v8
	v_mul_f32_e32 v8, v199, v16
	v_mul_f32_e32 v196, v193, v11
	v_fma_f32 v199, v198, v17, -v8
	v_mul_f32_e32 v8, v193, v10
	v_mul_f32_e32 v198, v195, v19
	s_delay_alu instid0(VALU_DEP_4) | instskip(NEXT) | instid1(VALU_DEP_3)
	v_fmac_f32_e32 v196, v192, v10
	v_fma_f32 v197, v192, v11, -v8
	v_mul_f32_e32 v8, v195, v18
	s_delay_alu instid0(VALU_DEP_4) | instskip(NEXT) | instid1(VALU_DEP_2)
	v_fmac_f32_e32 v198, v194, v18
	v_fma_f32 v194, v194, v19, -v8
	ds_load_2addr_b64 v[8:11], v219 offset0:70 offset1:205
	ds_load_2addr_b64 v[16:19], v218 offset0:112 offset1:247
	s_wait_dscnt 0x1
	v_mul_f32_e32 v192, v189, v9
	s_wait_dscnt 0x0
	v_dual_mul_f32 v36, v185, v11 :: v_dual_mul_f32 v193, v191, v17
	v_mul_f32_e32 v38, v187, v19
	s_delay_alu instid0(VALU_DEP_3) | instskip(SKIP_1) | instid1(VALU_DEP_4)
	v_fmac_f32_e32 v192, v188, v8
	v_mul_f32_e32 v8, v189, v8
	v_dual_fmac_f32 v36, v184, v10 :: v_dual_fmac_f32 v193, v190, v16
	s_delay_alu instid0(VALU_DEP_4) | instskip(NEXT) | instid1(VALU_DEP_3)
	v_fmac_f32_e32 v38, v186, v18
	v_fma_f32 v188, v188, v9, -v8
	v_mul_f32_e32 v8, v191, v16
	s_delay_alu instid0(VALU_DEP_1) | instskip(SKIP_1) | instid1(VALU_DEP_1)
	v_fma_f32 v189, v190, v17, -v8
	v_mul_f32_e32 v8, v185, v10
	v_fma_f32 v13, v184, v11, -v8
	v_mul_f32_e32 v8, v187, v18
	s_delay_alu instid0(VALU_DEP_1)
	v_fma_f32 v37, v186, v19, -v8
	ds_load_2addr_b64 v[8:11], v222 offset0:26 offset1:161
	ds_load_2addr_b64 v[16:19], v223 offset0:68 offset1:203
	s_wait_dscnt 0x1
	v_mul_f32_e32 v184, v181, v9
	s_wait_dscnt 0x0
	v_mul_f32_e32 v185, v183, v17
	s_delay_alu instid0(VALU_DEP_2) | instskip(NEXT) | instid1(VALU_DEP_1)
	v_dual_mul_f32 v39, v177, v11 :: v_dual_fmac_f32 v184, v180, v8
	v_dual_mul_f32 v8, v181, v8 :: v_dual_fmac_f32 v39, v176, v10
	s_delay_alu instid0(VALU_DEP_3) | instskip(NEXT) | instid1(VALU_DEP_2)
	v_fmac_f32_e32 v185, v182, v16
	v_fma_f32 v180, v180, v9, -v8
	v_dual_mul_f32 v8, v183, v16 :: v_dual_add_nc_u32 v183, 0x800, v93
	ds_load_2addr_b64 v[28:31], v183 offset0:14 offset1:149
	ds_load_2addr_b64 v[20:23], v232 offset0:28 offset1:163
	global_wb scope:SCOPE_SE
	s_wait_dscnt 0x0
	s_barrier_signal -1
	s_barrier_wait -1
	global_inv scope:SCOPE_SE
	scratch_load_b32 v27, off, off offset:524 th:TH_LOAD_LU ; 4-byte Folded Reload
	v_fma_f32 v181, v182, v17, -v8
	v_dual_mul_f32 v8, v177, v10 :: v_dual_mul_f32 v177, v179, v19
	v_sub_f32_e32 v9, v7, v5
	v_add_f32_e32 v10, v3, v5
	v_sub_f32_e32 v16, v0, v2
	s_delay_alu instid0(VALU_DEP_4)
	v_fma_f32 v176, v176, v11, -v8
	v_mul_f32_e32 v8, v179, v18
	v_fmac_f32_e32 v177, v178, v18
	v_add_f32_e32 v11, v2, v4
	v_fma_f32 v10, -0.5, v10, v32
	v_sub_f32_e32 v17, v6, v4
	v_fma_f32 v178, v178, v19, -v8
	v_sub_f32_e32 v8, v1, v3
	v_fma_f32 v11, -0.5, v11, v33
	v_sub_f32_e32 v19, v0, v6
	v_dual_add_f32 v18, v16, v17 :: v_dual_mov_b32 v179, v45
	s_delay_alu instid0(VALU_DEP_4) | instskip(SKIP_1) | instid1(VALU_DEP_4)
	v_add_f32_e32 v12, v8, v9
	v_dual_add_f32 v8, v32, v1 :: v_dual_add_f32 v9, v33, v0
	v_fmamk_f32 v16, v19, 0xbf737871, v10
	v_dual_fmamk_f32 v17, v25, 0x3f737871, v11 :: v_dual_fmac_f32 v10, 0x3f737871, v19
	s_delay_alu instid0(VALU_DEP_3) | instskip(NEXT) | instid1(VALU_DEP_3)
	v_dual_add_f32 v8, v8, v3 :: v_dual_add_f32 v9, v9, v2
	v_fmac_f32_e32 v16, 0xbf167918, v24
	s_delay_alu instid0(VALU_DEP_3) | instskip(SKIP_1) | instid1(VALU_DEP_4)
	v_fmac_f32_e32 v17, 0x3f167918, v26
	v_sub_f32_e32 v3, v3, v1
	v_dual_add_f32 v8, v8, v5 :: v_dual_add_f32 v9, v9, v4
	s_delay_alu instid0(VALU_DEP_3) | instskip(SKIP_1) | instid1(VALU_DEP_3)
	v_dual_fmac_f32 v16, 0x3e9e377a, v12 :: v_dual_fmac_f32 v17, 0x3e9e377a, v18
	v_sub_f32_e32 v5, v5, v7
	v_dual_add_f32 v8, v8, v7 :: v_dual_add_f32 v9, v9, v6
	v_add_f32_e32 v1, v1, v7
	v_fmac_f32_e32 v11, 0xbf737871, v25
	s_delay_alu instid0(VALU_DEP_4) | instskip(SKIP_1) | instid1(VALU_DEP_4)
	v_add_f32_e32 v3, v3, v5
	v_dual_add_f32 v5, v0, v6 :: v_dual_fmac_f32 v10, 0x3f167918, v24
	v_fma_f32 v7, -0.5, v1, v32
	v_dual_sub_f32 v1, v2, v0 :: v_dual_sub_f32 v2, v4, v6
	v_add_f32_e32 v4, v34, v211
	v_sub_f32_e32 v6, v212, v215
	s_delay_alu instid0(VALU_DEP_4) | instskip(NEXT) | instid1(VALU_DEP_4)
	v_fmamk_f32 v0, v24, 0x3f737871, v7
	v_dual_fmac_f32 v7, 0xbf737871, v24 :: v_dual_add_f32 v2, v1, v2
	v_fmac_f32_e32 v11, 0xbf167918, v26
	v_fmac_f32_e32 v10, 0x3e9e377a, v12
	s_delay_alu instid0(VALU_DEP_4) | instskip(NEXT) | instid1(VALU_DEP_4)
	v_fmac_f32_e32 v0, 0xbf167918, v19
	v_fmac_f32_e32 v7, 0x3f167918, v19
	s_delay_alu instid0(VALU_DEP_2) | instskip(NEXT) | instid1(VALU_DEP_2)
	v_dual_fmac_f32 v11, 0x3e9e377a, v18 :: v_dual_fmac_f32 v0, 0x3e9e377a, v3
	v_fmac_f32_e32 v7, 0x3e9e377a, v3
	v_add_f32_e32 v3, v210, v217
	s_wait_loadcnt 0x0
	ds_store_2addr_b64 v27, v[8:9], v[16:17] offset1:10
	scratch_load_b32 v16, off, off offset:528 th:TH_LOAD_LU ; 4-byte Folded Reload
	v_fma_f32 v8, -0.5, v5, v33
	v_add_f32_e32 v5, v35, v210
	v_sub_f32_e32 v9, v213, v214
	ds_store_b64 v27, v[10:11] offset:320
	v_dual_sub_f32 v10, v211, v216 :: v_dual_fmamk_f32 v1, v26, 0xbf737871, v8
	v_dual_fmac_f32 v8, 0x3f737871, v26 :: v_dual_sub_f32 v11, v217, v215
	s_delay_alu instid0(VALU_DEP_2) | instskip(NEXT) | instid1(VALU_DEP_2)
	v_fmac_f32_e32 v1, 0x3f167918, v25
	v_fmac_f32_e32 v8, 0xbf167918, v25
	s_delay_alu instid0(VALU_DEP_2) | instskip(NEXT) | instid1(VALU_DEP_2)
	v_fmac_f32_e32 v1, 0x3e9e377a, v2
	v_fmac_f32_e32 v8, 0x3e9e377a, v2
	v_sub_f32_e32 v2, v214, v216
	ds_store_2addr_b64 v27, v[0:1], v[7:8] offset0:20 offset1:30
	v_dual_add_f32 v0, v213, v214 :: v_dual_add_f32 v1, v211, v216
	v_sub_f32_e32 v7, v210, v217
	v_sub_f32_e32 v8, v215, v217
	s_delay_alu instid0(VALU_DEP_3) | instskip(NEXT) | instid1(VALU_DEP_4)
	v_fma_f32 v0, -0.5, v0, v34
	v_fma_f32 v34, -0.5, v1, v34
	v_sub_f32_e32 v1, v213, v211
	s_delay_alu instid0(VALU_DEP_1) | instskip(SKIP_1) | instid1(VALU_DEP_2)
	v_dual_add_f32 v1, v1, v2 :: v_dual_fmamk_f32 v2, v6, 0x3f737871, v34
	v_fmac_f32_e32 v34, 0xbf737871, v6
	v_fmac_f32_e32 v2, 0xbf167918, v7
	s_delay_alu instid0(VALU_DEP_2) | instskip(NEXT) | instid1(VALU_DEP_2)
	v_fmac_f32_e32 v34, 0x3f167918, v7
	v_fmac_f32_e32 v2, 0x3e9e377a, v1
	s_delay_alu instid0(VALU_DEP_2) | instskip(NEXT) | instid1(VALU_DEP_1)
	v_dual_fmac_f32 v34, 0x3e9e377a, v1 :: v_dual_add_f32 v1, v212, v215
	v_fma_f32 v1, -0.5, v1, v35
	v_fmac_f32_e32 v35, -0.5, v3
	v_sub_f32_e32 v3, v212, v210
	s_delay_alu instid0(VALU_DEP_1) | instskip(SKIP_1) | instid1(VALU_DEP_2)
	v_dual_add_f32 v8, v3, v8 :: v_dual_fmamk_f32 v3, v9, 0xbf737871, v35
	v_fmac_f32_e32 v35, 0x3f737871, v9
	v_fmac_f32_e32 v3, 0x3f167918, v10
	s_delay_alu instid0(VALU_DEP_2) | instskip(NEXT) | instid1(VALU_DEP_2)
	v_fmac_f32_e32 v35, 0xbf167918, v10
	v_fmac_f32_e32 v3, 0x3e9e377a, v8
	s_delay_alu instid0(VALU_DEP_2) | instskip(SKIP_1) | instid1(VALU_DEP_1)
	v_fmac_f32_e32 v35, 0x3e9e377a, v8
	v_sub_f32_e32 v8, v210, v212
	v_add_f32_e32 v8, v8, v11
	v_sub_f32_e32 v11, v209, v203
	s_wait_loadcnt 0x0
	ds_store_2addr_b64 v16, v[2:3], v[34:35] offset0:20 offset1:30
	v_add_f32_e32 v2, v4, v213
	v_dual_sub_f32 v4, v211, v213 :: v_dual_add_f32 v3, v5, v212
	v_sub_f32_e32 v5, v216, v214
	s_delay_alu instid0(VALU_DEP_2) | instskip(NEXT) | instid1(VALU_DEP_2)
	v_dual_add_f32 v2, v2, v214 :: v_dual_add_f32 v3, v3, v215
	v_add_f32_e32 v12, v4, v5
	v_fmamk_f32 v4, v7, 0xbf737871, v0
	v_dual_fmamk_f32 v5, v10, 0x3f737871, v1 :: v_dual_fmac_f32 v0, 0x3f737871, v7
	s_delay_alu instid0(VALU_DEP_4) | instskip(NEXT) | instid1(VALU_DEP_3)
	v_dual_fmac_f32 v1, 0xbf737871, v10 :: v_dual_add_f32 v2, v2, v216
	v_fmac_f32_e32 v4, 0xbf167918, v6
	s_delay_alu instid0(VALU_DEP_3) | instskip(NEXT) | instid1(VALU_DEP_3)
	v_dual_fmac_f32 v5, 0x3f167918, v9 :: v_dual_fmac_f32 v0, 0x3f167918, v6
	v_fmac_f32_e32 v1, 0xbf167918, v9
	s_delay_alu instid0(VALU_DEP_3) | instskip(NEXT) | instid1(VALU_DEP_3)
	v_dual_add_f32 v3, v3, v217 :: v_dual_fmac_f32 v4, 0x3e9e377a, v12
	v_fmac_f32_e32 v5, 0x3e9e377a, v8
	s_delay_alu instid0(VALU_DEP_4) | instskip(NEXT) | instid1(VALU_DEP_4)
	v_fmac_f32_e32 v0, 0x3e9e377a, v12
	v_dual_fmac_f32 v1, 0x3e9e377a, v8 :: v_dual_sub_f32 v8, v15, v199
	v_sub_f32_e32 v10, v208, v206
	ds_store_2addr_b64 v16, v[2:3], v[4:5] offset1:10
	v_add_f32_e32 v2, v209, v203
	ds_store_b64 v16, v[0:1] offset:320
	scratch_load_b32 v16, off, off offset:532 th:TH_LOAD_LU ; 4-byte Folded Reload
	v_dual_sub_f32 v0, v208, v209 :: v_dual_sub_f32 v1, v206, v203
	v_add_f32_e32 v3, v205, v202
	v_fma_f32 v2, -0.5, v2, v28
	v_sub_f32_e32 v4, v15, v205
	s_delay_alu instid0(VALU_DEP_4) | instskip(SKIP_2) | instid1(VALU_DEP_3)
	v_dual_sub_f32 v5, v199, v202 :: v_dual_add_f32 v6, v0, v1
	v_dual_add_f32 v0, v28, v208 :: v_dual_add_f32 v1, v29, v15
	v_fma_f32 v3, -0.5, v3, v29
	v_add_f32_e32 v7, v4, v5
	s_delay_alu instid0(VALU_DEP_3) | instskip(NEXT) | instid1(VALU_DEP_4)
	v_dual_sub_f32 v9, v205, v202 :: v_dual_add_f32 v0, v0, v209
	v_dual_add_f32 v1, v1, v205 :: v_dual_fmamk_f32 v4, v8, 0xbf737871, v2
	s_delay_alu instid0(VALU_DEP_4) | instskip(NEXT) | instid1(VALU_DEP_2)
	v_dual_fmamk_f32 v5, v10, 0x3f737871, v3 :: v_dual_sub_f32 v12, v205, v15
	v_dual_add_f32 v0, v0, v203 :: v_dual_add_f32 v1, v1, v202
	s_delay_alu instid0(VALU_DEP_3) | instskip(NEXT) | instid1(VALU_DEP_3)
	v_fmac_f32_e32 v4, 0xbf167918, v9
	v_fmac_f32_e32 v5, 0x3f167918, v11
	;; [unrolled: 1-line block ×3, first 2 shown]
	s_delay_alu instid0(VALU_DEP_4) | instskip(NEXT) | instid1(VALU_DEP_3)
	v_dual_add_f32 v0, v0, v206 :: v_dual_add_f32 v1, v1, v199
	v_dual_fmac_f32 v4, 0x3e9e377a, v6 :: v_dual_fmac_f32 v5, 0x3e9e377a, v7
	v_fmac_f32_e32 v3, 0xbf737871, v10
	s_delay_alu instid0(VALU_DEP_4) | instskip(NEXT) | instid1(VALU_DEP_2)
	v_fmac_f32_e32 v2, 0x3f167918, v9
	v_fmac_f32_e32 v3, 0xbf167918, v11
	s_delay_alu instid0(VALU_DEP_2) | instskip(NEXT) | instid1(VALU_DEP_2)
	v_fmac_f32_e32 v2, 0x3e9e377a, v6
	v_dual_sub_f32 v6, v200, v197 :: v_dual_fmac_f32 v3, 0x3e9e377a, v7
	v_sub_f32_e32 v7, v14, v194
	s_wait_loadcnt 0x0
	ds_store_2addr_b64 v16, v[0:1], v[4:5] offset1:10
	v_dual_sub_f32 v0, v209, v208 :: v_dual_sub_f32 v1, v203, v206
	v_add_f32_e32 v4, v208, v206
	ds_store_b64 v16, v[2:3] offset:320
	v_sub_f32_e32 v2, v196, v198
	v_add_f32_e32 v3, v14, v194
	v_add_f32_e32 v5, v0, v1
	v_add_f32_e32 v1, v15, v199
	v_sub_f32_e32 v15, v202, v199
	v_fma_f32 v0, -0.5, v4, v28
	s_delay_alu instid0(VALU_DEP_3) | instskip(NEXT) | instid1(VALU_DEP_3)
	v_fma_f32 v1, -0.5, v1, v29
	v_add_f32_e32 v12, v12, v15
	scratch_load_b32 v15, off, off offset:540 th:TH_LOAD_LU ; 4-byte Folded Reload
	v_fmamk_f32 v4, v9, 0x3f737871, v0
	v_dual_fmac_f32 v0, 0xbf737871, v9 :: v_dual_sub_f32 v9, v201, v196
	s_delay_alu instid0(VALU_DEP_2) | instskip(NEXT) | instid1(VALU_DEP_2)
	v_fmac_f32_e32 v4, 0xbf167918, v8
	v_fmac_f32_e32 v0, 0x3f167918, v8
	v_sub_f32_e32 v8, v197, v194
	s_delay_alu instid0(VALU_DEP_3) | instskip(NEXT) | instid1(VALU_DEP_3)
	v_fmac_f32_e32 v4, 0x3e9e377a, v5
	v_fmac_f32_e32 v0, 0x3e9e377a, v5
	v_fmamk_f32 v5, v11, 0xbf737871, v1
	v_fmac_f32_e32 v1, 0x3f737871, v11
	v_sub_f32_e32 v11, v194, v197
	s_delay_alu instid0(VALU_DEP_3) | instskip(NEXT) | instid1(VALU_DEP_3)
	v_fmac_f32_e32 v5, 0x3f167918, v10
	v_fmac_f32_e32 v1, 0xbf167918, v10
	s_delay_alu instid0(VALU_DEP_2) | instskip(NEXT) | instid1(VALU_DEP_2)
	v_dual_sub_f32 v10, v204, v198 :: v_dual_fmac_f32 v5, 0x3e9e377a, v12
	v_fmac_f32_e32 v1, 0x3e9e377a, v12
	ds_store_2addr_b64 v16, v[4:5], v[0:1] offset0:20 offset1:30
	v_dual_add_f32 v0, v201, v196 :: v_dual_add_f32 v1, v204, v198
	v_dual_add_f32 v4, v30, v204 :: v_dual_add_f32 v5, v31, v14
	s_delay_alu instid0(VALU_DEP_2) | instskip(NEXT) | instid1(VALU_DEP_3)
	v_fma_f32 v0, -0.5, v0, v30
	v_fma_f32 v30, -0.5, v1, v30
	v_sub_f32_e32 v1, v201, v204
	s_delay_alu instid0(VALU_DEP_1) | instskip(SKIP_1) | instid1(VALU_DEP_2)
	v_dual_add_f32 v1, v1, v2 :: v_dual_fmamk_f32 v2, v6, 0x3f737871, v30
	v_fmac_f32_e32 v30, 0xbf737871, v6
	v_fmac_f32_e32 v2, 0xbf167918, v7
	s_delay_alu instid0(VALU_DEP_2) | instskip(NEXT) | instid1(VALU_DEP_2)
	v_fmac_f32_e32 v30, 0x3f167918, v7
	v_fmac_f32_e32 v2, 0x3e9e377a, v1
	s_delay_alu instid0(VALU_DEP_2) | instskip(SKIP_1) | instid1(VALU_DEP_1)
	v_fmac_f32_e32 v30, 0x3e9e377a, v1
	v_add_f32_e32 v1, v200, v197
	v_fma_f32 v1, -0.5, v1, v31
	v_fmac_f32_e32 v31, -0.5, v3
	v_sub_f32_e32 v3, v200, v14
	s_delay_alu instid0(VALU_DEP_1) | instskip(SKIP_1) | instid1(VALU_DEP_2)
	v_dual_add_f32 v8, v3, v8 :: v_dual_fmamk_f32 v3, v9, 0xbf737871, v31
	v_fmac_f32_e32 v31, 0x3f737871, v9
	v_fmac_f32_e32 v3, 0x3f167918, v10
	s_delay_alu instid0(VALU_DEP_2) | instskip(NEXT) | instid1(VALU_DEP_2)
	v_fmac_f32_e32 v31, 0xbf167918, v10
	v_fmac_f32_e32 v3, 0x3e9e377a, v8
	s_delay_alu instid0(VALU_DEP_2) | instskip(SKIP_2) | instid1(VALU_DEP_2)
	v_fmac_f32_e32 v31, 0x3e9e377a, v8
	v_sub_f32_e32 v8, v14, v200
	v_sub_f32_e32 v14, v180, v181
	v_dual_add_f32 v8, v8, v11 :: v_dual_sub_f32 v11, v193, v184
	s_wait_loadcnt 0x0
	ds_store_2addr_b64 v15, v[2:3], v[30:31] offset0:20 offset1:30
	v_add_f32_e32 v2, v4, v201
	v_dual_sub_f32 v4, v204, v201 :: v_dual_add_f32 v3, v5, v200
	v_sub_f32_e32 v5, v198, v196
	s_delay_alu instid0(VALU_DEP_2) | instskip(NEXT) | instid1(VALU_DEP_2)
	v_dual_add_f32 v2, v2, v196 :: v_dual_add_f32 v3, v3, v197
	v_add_f32_e32 v12, v4, v5
	v_fmamk_f32 v4, v7, 0xbf737871, v0
	v_dual_fmamk_f32 v5, v10, 0x3f737871, v1 :: v_dual_fmac_f32 v0, 0x3f737871, v7
	v_fmac_f32_e32 v1, 0xbf737871, v10
	v_add_f32_e32 v2, v2, v198
	s_delay_alu instid0(VALU_DEP_4) | instskip(NEXT) | instid1(VALU_DEP_4)
	v_fmac_f32_e32 v4, 0xbf167918, v6
	v_dual_fmac_f32 v5, 0x3f167918, v9 :: v_dual_fmac_f32 v0, 0x3f167918, v6
	s_delay_alu instid0(VALU_DEP_4) | instskip(NEXT) | instid1(VALU_DEP_3)
	v_fmac_f32_e32 v1, 0xbf167918, v9
	v_dual_add_f32 v3, v3, v194 :: v_dual_fmac_f32 v4, 0x3e9e377a, v12
	s_delay_alu instid0(VALU_DEP_3) | instskip(NEXT) | instid1(VALU_DEP_4)
	v_fmac_f32_e32 v5, 0x3e9e377a, v8
	v_fmac_f32_e32 v0, 0x3e9e377a, v12
	s_delay_alu instid0(VALU_DEP_4)
	v_fmac_f32_e32 v1, 0x3e9e377a, v8
	v_sub_f32_e32 v12, v189, v188
	v_sub_f32_e32 v8, v188, v181
	ds_store_2addr_b64 v15, v[2:3], v[4:5] offset1:10
	v_add_f32_e32 v2, v193, v184
	ds_store_b64 v15, v[0:1] offset:320
	scratch_load_b32 v15, off, off offset:544 th:TH_LOAD_LU ; 4-byte Folded Reload
	v_add_f32_e32 v12, v12, v14
	scratch_load_b32 v14, off, off offset:536 th:TH_LOAD_LU ; 4-byte Folded Reload
	v_dual_sub_f32 v0, v192, v193 :: v_dual_sub_f32 v1, v185, v184
	v_add_f32_e32 v3, v189, v180
	v_fma_f32 v2, -0.5, v2, v20
	v_dual_sub_f32 v4, v188, v189 :: v_dual_sub_f32 v5, v181, v180
	s_delay_alu instid0(VALU_DEP_4)
	v_add_f32_e32 v6, v0, v1
	v_add_f32_e32 v0, v20, v192
	;; [unrolled: 1-line block ×3, first 2 shown]
	v_fma_f32 v3, -0.5, v3, v21
	v_sub_f32_e32 v10, v192, v185
	v_add_f32_e32 v7, v4, v5
	v_add_f32_e32 v0, v0, v193
	;; [unrolled: 1-line block ×3, first 2 shown]
	v_dual_sub_f32 v9, v189, v180 :: v_dual_fmamk_f32 v4, v8, 0xbf737871, v2
	s_delay_alu instid0(VALU_DEP_3) | instskip(NEXT) | instid1(VALU_DEP_3)
	v_dual_fmamk_f32 v5, v10, 0x3f737871, v3 :: v_dual_add_f32 v0, v0, v184
	v_add_f32_e32 v1, v1, v180
	v_fmac_f32_e32 v2, 0x3f737871, v8
	s_delay_alu instid0(VALU_DEP_4) | instskip(NEXT) | instid1(VALU_DEP_4)
	v_fmac_f32_e32 v4, 0xbf167918, v9
	v_dual_fmac_f32 v5, 0x3f167918, v11 :: v_dual_add_f32 v0, v0, v185
	s_delay_alu instid0(VALU_DEP_4) | instskip(SKIP_1) | instid1(VALU_DEP_3)
	v_add_f32_e32 v1, v1, v181
	v_fmac_f32_e32 v3, 0xbf737871, v10
	v_dual_fmac_f32 v4, 0x3e9e377a, v6 :: v_dual_fmac_f32 v5, 0x3e9e377a, v7
	v_fmac_f32_e32 v2, 0x3f167918, v9
	s_delay_alu instid0(VALU_DEP_3) | instskip(NEXT) | instid1(VALU_DEP_2)
	v_fmac_f32_e32 v3, 0xbf167918, v11
	v_fmac_f32_e32 v2, 0x3e9e377a, v6
	s_delay_alu instid0(VALU_DEP_2)
	v_dual_sub_f32 v6, v37, v176 :: v_dual_fmac_f32 v3, 0x3e9e377a, v7
	v_sub_f32_e32 v7, v13, v178
	s_wait_loadcnt 0x1
	ds_store_2addr_b64 v15, v[0:1], v[4:5] offset1:10
	v_dual_sub_f32 v0, v193, v192 :: v_dual_sub_f32 v1, v184, v185
	v_add_f32_e32 v4, v192, v185
	ds_store_b64 v15, v[2:3] offset:320
	v_dual_sub_f32 v2, v39, v177 :: v_dual_add_f32 v3, v13, v178
	v_add_f32_e32 v5, v0, v1
	v_fma_f32 v0, -0.5, v4, v20
	s_delay_alu instid0(VALU_DEP_1) | instskip(SKIP_1) | instid1(VALU_DEP_2)
	v_dual_add_f32 v1, v188, v181 :: v_dual_fmamk_f32 v4, v9, 0x3f737871, v0
	v_fmac_f32_e32 v0, 0xbf737871, v9
	v_fma_f32 v1, -0.5, v1, v21
	s_delay_alu instid0(VALU_DEP_3) | instskip(NEXT) | instid1(VALU_DEP_3)
	v_dual_sub_f32 v9, v38, v39 :: v_dual_fmac_f32 v4, 0xbf167918, v8
	v_fmac_f32_e32 v0, 0x3f167918, v8
	v_sub_f32_e32 v8, v176, v178
	s_delay_alu instid0(VALU_DEP_3) | instskip(NEXT) | instid1(VALU_DEP_3)
	v_fmac_f32_e32 v4, 0x3e9e377a, v5
	v_fmac_f32_e32 v0, 0x3e9e377a, v5
	v_fmamk_f32 v5, v11, 0xbf737871, v1
	v_fmac_f32_e32 v1, 0x3f737871, v11
	v_sub_f32_e32 v11, v178, v176
	s_delay_alu instid0(VALU_DEP_3) | instskip(NEXT) | instid1(VALU_DEP_3)
	v_fmac_f32_e32 v5, 0x3f167918, v10
	v_fmac_f32_e32 v1, 0xbf167918, v10
	s_delay_alu instid0(VALU_DEP_2) | instskip(NEXT) | instid1(VALU_DEP_2)
	v_fmac_f32_e32 v5, 0x3e9e377a, v12
	v_dual_fmac_f32 v1, 0x3e9e377a, v12 :: v_dual_sub_f32 v10, v36, v177
	ds_store_2addr_b64 v15, v[4:5], v[0:1] offset0:20 offset1:30
	v_dual_add_f32 v0, v38, v39 :: v_dual_add_f32 v1, v36, v177
	v_dual_add_f32 v4, v22, v36 :: v_dual_add_f32 v5, v23, v13
	s_delay_alu instid0(VALU_DEP_2) | instskip(NEXT) | instid1(VALU_DEP_3)
	v_fma_f32 v0, -0.5, v0, v22
	v_fma_f32 v22, -0.5, v1, v22
	v_sub_f32_e32 v1, v38, v36
	s_delay_alu instid0(VALU_DEP_1) | instskip(SKIP_1) | instid1(VALU_DEP_2)
	v_dual_add_f32 v1, v1, v2 :: v_dual_fmamk_f32 v2, v6, 0x3f737871, v22
	v_fmac_f32_e32 v22, 0xbf737871, v6
	v_fmac_f32_e32 v2, 0xbf167918, v7
	s_delay_alu instid0(VALU_DEP_2) | instskip(NEXT) | instid1(VALU_DEP_2)
	v_fmac_f32_e32 v22, 0x3f167918, v7
	v_fmac_f32_e32 v2, 0x3e9e377a, v1
	s_delay_alu instid0(VALU_DEP_2) | instskip(NEXT) | instid1(VALU_DEP_1)
	v_dual_fmac_f32 v22, 0x3e9e377a, v1 :: v_dual_add_f32 v1, v37, v176
	v_fma_f32 v1, -0.5, v1, v23
	v_fmac_f32_e32 v23, -0.5, v3
	v_sub_f32_e32 v3, v37, v13
	s_delay_alu instid0(VALU_DEP_1) | instskip(SKIP_1) | instid1(VALU_DEP_2)
	v_dual_add_f32 v8, v3, v8 :: v_dual_fmamk_f32 v3, v9, 0xbf737871, v23
	v_fmac_f32_e32 v23, 0x3f737871, v9
	v_fmac_f32_e32 v3, 0x3f167918, v10
	s_delay_alu instid0(VALU_DEP_2) | instskip(NEXT) | instid1(VALU_DEP_2)
	v_fmac_f32_e32 v23, 0xbf167918, v10
	v_fmac_f32_e32 v3, 0x3e9e377a, v8
	s_delay_alu instid0(VALU_DEP_2)
	v_dual_fmac_f32 v23, 0x3e9e377a, v8 :: v_dual_sub_f32 v8, v13, v37
	s_wait_loadcnt 0x0
	ds_store_2addr_b64 v14, v[2:3], v[22:23] offset0:20 offset1:30
	v_add_f32_e32 v2, v4, v38
	v_dual_sub_f32 v4, v36, v38 :: v_dual_add_f32 v3, v5, v37
	v_sub_f32_e32 v5, v177, v39
	v_add_f32_e32 v8, v8, v11
	s_delay_alu instid0(VALU_DEP_3) | instskip(NEXT) | instid1(VALU_DEP_3)
	v_dual_add_f32 v2, v2, v39 :: v_dual_add_f32 v3, v3, v176
	v_add_f32_e32 v12, v4, v5
	v_fmamk_f32 v4, v7, 0xbf737871, v0
	v_dual_fmamk_f32 v5, v10, 0x3f737871, v1 :: v_dual_fmac_f32 v0, 0x3f737871, v7
	s_delay_alu instid0(VALU_DEP_4) | instskip(NEXT) | instid1(VALU_DEP_3)
	v_dual_fmac_f32 v1, 0xbf737871, v10 :: v_dual_add_f32 v2, v2, v177
	v_fmac_f32_e32 v4, 0xbf167918, v6
	s_delay_alu instid0(VALU_DEP_3) | instskip(NEXT) | instid1(VALU_DEP_3)
	v_dual_fmac_f32 v5, 0x3f167918, v9 :: v_dual_fmac_f32 v0, 0x3f167918, v6
	v_fmac_f32_e32 v1, 0xbf167918, v9
	s_delay_alu instid0(VALU_DEP_3) | instskip(NEXT) | instid1(VALU_DEP_3)
	v_dual_add_f32 v3, v3, v178 :: v_dual_fmac_f32 v4, 0x3e9e377a, v12
	v_fmac_f32_e32 v5, 0x3e9e377a, v8
	s_delay_alu instid0(VALU_DEP_4) | instskip(NEXT) | instid1(VALU_DEP_4)
	v_fmac_f32_e32 v0, 0x3e9e377a, v12
	v_dual_fmac_f32 v1, 0x3e9e377a, v8 :: v_dual_mov_b32 v178, v42
	v_mov_b32_e32 v177, v47
	ds_store_2addr_b64 v14, v[2:3], v[4:5] offset1:10
	ds_store_b64 v14, v[0:1] offset:320
	global_wb scope:SCOPE_SE
	s_wait_dscnt 0x0
	s_barrier_signal -1
	s_barrier_wait -1
	global_inv scope:SCOPE_SE
	ds_load_2addr_b64 v[0:3], v219 offset0:70 offset1:205
	ds_load_2addr_b64 v[4:7], v47 offset0:12 offset1:147
	s_wait_dscnt 0x1
	v_mul_f32_e32 v8, v141, v1
	v_mul_f32_e32 v12, v137, v3
	s_wait_dscnt 0x0
	v_mul_f32_e32 v10, v143, v5
	v_mul_f32_e32 v26, v139, v7
	v_fmac_f32_e32 v8, v140, v0
	v_mul_f32_e32 v0, v141, v0
	v_fmac_f32_e32 v12, v136, v2
	v_fmac_f32_e32 v10, v142, v4
	v_fmac_f32_e32 v26, v138, v6
	s_delay_alu instid0(VALU_DEP_4) | instskip(SKIP_1) | instid1(VALU_DEP_1)
	v_fma_f32 v9, v140, v1, -v0
	v_mul_f32_e32 v0, v143, v4
	v_fma_f32 v11, v142, v5, -v0
	v_mul_f32_e32 v0, v137, v2
	s_delay_alu instid0(VALU_DEP_1) | instskip(SKIP_1) | instid1(VALU_DEP_1)
	v_fma_f32 v25, v136, v3, -v0
	v_mul_f32_e32 v0, v139, v6
	v_fma_f32 v27, v138, v7, -v0
	ds_load_2addr_b64 v[0:3], v42 offset0:84 offset1:219
	ds_load_2addr_b64 v[4:7], v222 offset0:26 offset1:161
	s_wait_dscnt 0x1
	v_mul_f32_e32 v28, v149, v1
	v_mul_f32_e32 v32, v145, v3
	s_wait_dscnt 0x0
	v_mul_f32_e32 v30, v151, v5
	v_mul_f32_e32 v34, v147, v7
	v_fmac_f32_e32 v28, v148, v0
	v_mul_f32_e32 v0, v149, v0
	v_fmac_f32_e32 v32, v144, v2
	v_fmac_f32_e32 v30, v150, v4
	v_dual_fmac_f32 v34, v146, v6 :: v_dual_mov_b32 v149, v43
	s_delay_alu instid0(VALU_DEP_4) | instskip(SKIP_1) | instid1(VALU_DEP_1)
	v_fma_f32 v29, v148, v1, -v0
	v_mul_f32_e32 v0, v151, v4
	v_fma_f32 v31, v150, v5, -v0
	v_mul_f32_e32 v0, v145, v2
	v_sub_f32_e32 v145, v9, v11
	s_delay_alu instid0(VALU_DEP_2) | instskip(SKIP_1) | instid1(VALU_DEP_1)
	v_fma_f32 v33, v144, v3, -v0
	v_mul_f32_e32 v0, v147, v6
	v_fma_f32 v35, v146, v7, -v0
	ds_load_2addr_b64 v[0:3], v45 offset0:98 offset1:233
	ds_load_2addr_b64 v[4:7], v43 offset0:40 offset1:175
	v_sub_f32_e32 v146, v8, v10
	s_wait_dscnt 0x1
	v_mul_f32_e32 v36, v157, v1
	v_mul_f32_e32 v40, v153, v3
	s_wait_dscnt 0x0
	v_mul_f32_e32 v38, v159, v5
	v_mul_f32_e32 v42, v155, v7
	v_fmac_f32_e32 v36, v156, v0
	v_mul_f32_e32 v0, v157, v0
	v_fmac_f32_e32 v40, v152, v2
	v_fmac_f32_e32 v38, v158, v4
	;; [unrolled: 1-line block ×3, first 2 shown]
	s_delay_alu instid0(VALU_DEP_4) | instskip(SKIP_2) | instid1(VALU_DEP_2)
	v_fma_f32 v37, v156, v1, -v0
	v_mul_f32_e32 v0, v159, v4
	v_mov_b32_e32 v156, v46
	v_fma_f32 v39, v158, v5, -v0
	v_mul_f32_e32 v0, v153, v2
	s_delay_alu instid0(VALU_DEP_1) | instskip(SKIP_1) | instid1(VALU_DEP_1)
	v_fma_f32 v41, v152, v3, -v0
	v_mul_f32_e32 v0, v155, v6
	v_fma_f32 v43, v154, v7, -v0
	ds_load_2addr_b64 v[0:3], v218 offset0:112 offset1:247
	ds_load_2addr_b64 v[4:7], v46 offset0:54 offset1:189
	s_wait_dscnt 0x1
	v_mul_f32_e32 v44, v165, v1
	v_mul_f32_e32 v92, v161, v3
	s_wait_dscnt 0x0
	v_mul_f32_e32 v46, v167, v5
	s_delay_alu instid0(VALU_DEP_3) | instskip(SKIP_2) | instid1(VALU_DEP_4)
	v_dual_mul_f32 v95, v163, v7 :: v_dual_fmac_f32 v44, v164, v0
	v_mul_f32_e32 v0, v165, v0
	v_fmac_f32_e32 v92, v160, v2
	v_fmac_f32_e32 v46, v166, v4
	s_delay_alu instid0(VALU_DEP_4) | instskip(NEXT) | instid1(VALU_DEP_4)
	v_fmac_f32_e32 v95, v162, v6
	v_fma_f32 v45, v164, v1, -v0
	v_mul_f32_e32 v0, v167, v4
	s_delay_alu instid0(VALU_DEP_1) | instskip(SKIP_1) | instid1(VALU_DEP_1)
	v_fma_f32 v47, v166, v5, -v0
	v_mul_f32_e32 v0, v161, v2
	v_fma_f32 v94, v160, v3, -v0
	v_mul_f32_e32 v0, v163, v6
	s_delay_alu instid0(VALU_DEP_1)
	v_fma_f32 v136, v162, v7, -v0
	ds_load_2addr_b64 v[0:3], v221 offset0:62 offset1:197
	ds_load_2addr_b64 v[4:7], v223 offset0:68 offset1:203
	s_wait_dscnt 0x1
	v_mul_f32_e32 v137, v173, v1
	v_mul_f32_e32 v141, v169, v3
	s_wait_dscnt 0x0
	v_mul_f32_e32 v139, v175, v5
	v_mul_f32_e32 v143, v171, v7
	v_fmac_f32_e32 v137, v172, v0
	v_dual_mul_f32 v0, v173, v0 :: v_dual_fmac_f32 v141, v168, v2
	s_delay_alu instid0(VALU_DEP_4) | instskip(NEXT) | instid1(VALU_DEP_4)
	v_fmac_f32_e32 v139, v174, v4
	v_fmac_f32_e32 v143, v170, v6
	s_delay_alu instid0(VALU_DEP_3) | instskip(SKIP_1) | instid1(VALU_DEP_1)
	v_fma_f32 v138, v172, v1, -v0
	v_mul_f32_e32 v0, v175, v4
	v_fma_f32 v140, v174, v5, -v0
	v_mul_f32_e32 v0, v169, v2
	s_delay_alu instid0(VALU_DEP_1) | instskip(SKIP_1) | instid1(VALU_DEP_1)
	v_fma_f32 v142, v168, v3, -v0
	v_mul_f32_e32 v0, v171, v6
	v_fma_f32 v144, v170, v7, -v0
	ds_load_2addr_b64 v[0:3], v93 offset1:135
	s_wait_dscnt 0x0
	v_dual_add_f32 v4, v0, v8 :: v_dual_add_f32 v5, v1, v9
	s_delay_alu instid0(VALU_DEP_1) | instskip(SKIP_1) | instid1(VALU_DEP_1)
	v_dual_add_f32 v21, v4, v10 :: v_dual_add_f32 v22, v5, v11
	v_dual_add_f32 v4, v9, v11 :: v_dual_add_f32 v5, v8, v10
	v_fma_f32 v1, -0.5, v4, v1
	s_delay_alu instid0(VALU_DEP_2)
	v_fma_f32 v0, -0.5, v5, v0
	ds_load_2addr_b64 v[4:7], v183 offset0:14 offset1:149
	ds_load_2addr_b64 v[8:11], v232 offset0:28 offset1:163
	;; [unrolled: 1-line block ×4, first 2 shown]
	global_wb scope:SCOPE_SE
	s_wait_dscnt 0x0
	s_barrier_signal -1
	s_barrier_wait -1
	global_inv scope:SCOPE_SE
	scratch_load_b32 v151, off, off offset:520 th:TH_LOAD_LU ; 4-byte Folded Reload
	v_fmamk_f32 v23, v145, 0xbf5db3d7, v0
	v_fmamk_f32 v24, v146, 0x3f5db3d7, v1
	v_fmac_f32_e32 v0, 0x3f5db3d7, v145
	v_fmac_f32_e32 v1, 0xbf5db3d7, v146
	s_wait_loadcnt 0x0
	ds_store_2addr_b64 v151, v[21:22], v[23:24] offset1:50
	scratch_load_b32 v24, off, off offset:516 th:TH_LOAD_LU ; 4-byte Folded Reload
	ds_store_b64 v151, v[0:1] offset:800
	v_dual_add_f32 v0, v12, v26 :: v_dual_add_f32 v1, v2, v12
	v_add_f32_e32 v21, v3, v25
	v_dual_sub_f32 v23, v25, v27 :: v_dual_sub_f32 v12, v12, v26
	s_delay_alu instid0(VALU_DEP_3) | instskip(NEXT) | instid1(VALU_DEP_4)
	v_fma_f32 v2, -0.5, v0, v2
	v_add_f32_e32 v0, v1, v26
	s_delay_alu instid0(VALU_DEP_4) | instskip(SKIP_1) | instid1(VALU_DEP_1)
	v_add_f32_e32 v1, v21, v27
	v_add_f32_e32 v21, v25, v27
	v_fmac_f32_e32 v3, -0.5, v21
	v_fmamk_f32 v21, v23, 0xbf5db3d7, v2
	v_fmac_f32_e32 v2, 0x3f5db3d7, v23
	s_delay_alu instid0(VALU_DEP_3)
	v_fmamk_f32 v22, v12, 0x3f5db3d7, v3
	v_dual_fmac_f32 v3, 0xbf5db3d7, v12 :: v_dual_sub_f32 v12, v29, v31
	s_wait_loadcnt 0x0
	ds_store_2addr_b64 v24, v[0:1], v[21:22] offset1:50
	scratch_load_b32 v22, off, off offset:512 th:TH_LOAD_LU ; 4-byte Folded Reload
	ds_store_b64 v24, v[2:3] offset:800
	v_add_f32_e32 v2, v28, v30
	v_dual_add_f32 v0, v4, v28 :: v_dual_add_f32 v3, v29, v31
	v_add_f32_e32 v1, v5, v29
	v_sub_f32_e32 v21, v28, v30
	s_delay_alu instid0(VALU_DEP_4) | instskip(NEXT) | instid1(VALU_DEP_4)
	v_fma_f32 v2, -0.5, v2, v4
	v_add_f32_e32 v0, v0, v30
	v_fma_f32 v3, -0.5, v3, v5
	s_delay_alu instid0(VALU_DEP_3)
	v_dual_add_f32 v1, v1, v31 :: v_dual_fmamk_f32 v4, v12, 0xbf5db3d7, v2
	v_fmac_f32_e32 v2, 0x3f5db3d7, v12
	scratch_load_b32 v12, off, off offset:508 th:TH_LOAD_LU ; 4-byte Folded Reload
	v_fmamk_f32 v5, v21, 0x3f5db3d7, v3
	v_fmac_f32_e32 v3, 0xbf5db3d7, v21
	s_wait_loadcnt 0x1
	ds_store_2addr_b64 v22, v[0:1], v[4:5] offset1:50
	ds_store_b64 v22, v[2:3] offset:800
	v_dual_add_f32 v0, v32, v34 :: v_dual_add_f32 v1, v6, v32
	v_add_f32_e32 v2, v7, v33
	v_dual_sub_f32 v4, v33, v35 :: v_dual_sub_f32 v5, v32, v34
	s_delay_alu instid0(VALU_DEP_3) | instskip(NEXT) | instid1(VALU_DEP_3)
	v_fma_f32 v6, -0.5, v0, v6
	v_dual_add_f32 v0, v1, v34 :: v_dual_add_f32 v1, v2, v35
	v_add_f32_e32 v2, v33, v35
	s_delay_alu instid0(VALU_DEP_1) | instskip(NEXT) | instid1(VALU_DEP_1)
	v_dual_fmac_f32 v7, -0.5, v2 :: v_dual_fmamk_f32 v2, v4, 0xbf5db3d7, v6
	v_dual_fmac_f32 v6, 0x3f5db3d7, v4 :: v_dual_fmamk_f32 v3, v5, 0x3f5db3d7, v7
	v_fmac_f32_e32 v7, 0xbf5db3d7, v5
	s_wait_loadcnt 0x0
	ds_store_2addr_b64 v12, v[0:1], v[2:3] offset1:50
	v_add_f32_e32 v2, v36, v38
	v_add_f32_e32 v0, v8, v36
	ds_store_b64 v12, v[6:7] offset:800
	v_sub_f32_e32 v6, v37, v39
	v_add_f32_e32 v3, v37, v39
	v_fma_f32 v2, -0.5, v2, v8
	scratch_load_b32 v8, off, off offset:504 th:TH_LOAD_LU ; 4-byte Folded Reload
	v_add_f32_e32 v1, v9, v37
	v_sub_f32_e32 v7, v36, v38
	v_fma_f32 v3, -0.5, v3, v9
	v_fmamk_f32 v4, v6, 0xbf5db3d7, v2
	v_fmac_f32_e32 v2, 0x3f5db3d7, v6
	scratch_load_b32 v6, off, off offset:500 th:TH_LOAD_LU ; 4-byte Folded Reload
	v_dual_add_f32 v0, v0, v38 :: v_dual_add_f32 v1, v1, v39
	v_fmamk_f32 v5, v7, 0x3f5db3d7, v3
	v_fmac_f32_e32 v3, 0xbf5db3d7, v7
	v_sub_f32_e32 v7, v44, v46
	s_wait_loadcnt 0x1
	ds_store_2addr_b64 v8, v[0:1], v[4:5] offset1:50
	ds_store_b64 v8, v[2:3] offset:800
	v_dual_add_f32 v0, v40, v42 :: v_dual_add_f32 v1, v10, v40
	v_add_f32_e32 v2, v11, v41
	v_dual_sub_f32 v4, v41, v43 :: v_dual_sub_f32 v5, v40, v42
	s_delay_alu instid0(VALU_DEP_3) | instskip(NEXT) | instid1(VALU_DEP_3)
	v_fma_f32 v10, -0.5, v0, v10
	v_dual_add_f32 v0, v1, v42 :: v_dual_add_f32 v1, v2, v43
	v_add_f32_e32 v2, v41, v43
	scratch_load_b32 v8, off, off offset:460 th:TH_LOAD_LU ; 4-byte Folded Reload
	v_dual_fmac_f32 v11, -0.5, v2 :: v_dual_fmamk_f32 v2, v4, 0xbf5db3d7, v10
	s_delay_alu instid0(VALU_DEP_1)
	v_dual_fmac_f32 v10, 0x3f5db3d7, v4 :: v_dual_fmamk_f32 v3, v5, 0x3f5db3d7, v11
	v_fmac_f32_e32 v11, 0xbf5db3d7, v5
	s_wait_loadcnt 0x1
	ds_store_2addr_b64 v6, v[0:1], v[2:3] offset1:50
	v_add_f32_e32 v2, v44, v46
	ds_store_b64 v6, v[10:11] offset:800
	v_sub_f32_e32 v6, v45, v47
	v_add_f32_e32 v3, v45, v47
	v_add_f32_e32 v0, v13, v44
	v_fma_f32 v2, -0.5, v2, v13
	v_add_f32_e32 v1, v14, v45
	s_delay_alu instid0(VALU_DEP_4) | instskip(NEXT) | instid1(VALU_DEP_4)
	v_fma_f32 v3, -0.5, v3, v14
	v_add_f32_e32 v0, v0, v46
	s_delay_alu instid0(VALU_DEP_4)
	v_fmamk_f32 v4, v6, 0xbf5db3d7, v2
	v_fmac_f32_e32 v2, 0x3f5db3d7, v6
	scratch_load_b32 v6, off, off offset:456 th:TH_LOAD_LU ; 4-byte Folded Reload
	v_add_f32_e32 v1, v1, v47
	v_fmamk_f32 v5, v7, 0x3f5db3d7, v3
	v_fmac_f32_e32 v3, 0xbf5db3d7, v7
	v_sub_f32_e32 v7, v137, v139
	s_wait_loadcnt 0x1
	ds_store_2addr_b64 v8, v[0:1], v[4:5] offset1:50
	v_add_f32_e32 v0, v92, v95
	ds_store_b64 v8, v[2:3] offset:800
	v_dual_add_f32 v2, v15, v92 :: v_dual_add_f32 v1, v16, v94
	v_sub_f32_e32 v4, v94, v136
	v_fma_f32 v15, -0.5, v0, v15
	v_dual_add_f32 v0, v94, v136 :: v_dual_sub_f32 v5, v92, v95
	scratch_load_b32 v8, off, off offset:452 th:TH_LOAD_LU ; 4-byte Folded Reload
	v_add_f32_e32 v1, v1, v136
	v_fmac_f32_e32 v16, -0.5, v0
	v_add_f32_e32 v0, v2, v95
	v_fmamk_f32 v2, v4, 0xbf5db3d7, v15
	v_fmac_f32_e32 v15, 0x3f5db3d7, v4
	s_delay_alu instid0(VALU_DEP_4)
	v_fmamk_f32 v3, v5, 0x3f5db3d7, v16
	v_fmac_f32_e32 v16, 0xbf5db3d7, v5
	s_wait_loadcnt 0x1
	ds_store_2addr_b64 v6, v[0:1], v[2:3] offset1:50
	v_add_f32_e32 v2, v137, v139
	ds_store_b64 v6, v[15:16] offset:800
	v_sub_f32_e32 v6, v138, v140
	v_dual_add_f32 v3, v138, v140 :: v_dual_add_f32 v0, v17, v137
	v_fma_f32 v2, -0.5, v2, v17
	v_add_f32_e32 v1, v18, v138
	s_delay_alu instid0(VALU_DEP_3) | instskip(NEXT) | instid1(VALU_DEP_4)
	v_fma_f32 v3, -0.5, v3, v18
	v_add_f32_e32 v0, v0, v139
	s_delay_alu instid0(VALU_DEP_4)
	v_fmamk_f32 v4, v6, 0xbf5db3d7, v2
	v_fmac_f32_e32 v2, 0x3f5db3d7, v6
	scratch_load_b32 v6, off, off offset:448 th:TH_LOAD_LU ; 4-byte Folded Reload
	v_add_f32_e32 v1, v1, v140
	v_fmamk_f32 v5, v7, 0x3f5db3d7, v3
	v_fmac_f32_e32 v3, 0xbf5db3d7, v7
	s_wait_loadcnt 0x1
	ds_store_2addr_b64 v8, v[0:1], v[4:5] offset1:50
	ds_store_b64 v8, v[2:3] offset:800
	v_dual_add_f32 v0, v141, v143 :: v_dual_add_f32 v1, v19, v141
	v_add_f32_e32 v2, v20, v142
	v_dual_sub_f32 v4, v142, v144 :: v_dual_sub_f32 v5, v141, v143
	s_delay_alu instid0(VALU_DEP_3) | instskip(NEXT) | instid1(VALU_DEP_3)
	v_fma_f32 v19, -0.5, v0, v19
	v_dual_add_f32 v0, v1, v143 :: v_dual_add_f32 v1, v2, v144
	v_add_f32_e32 v2, v142, v144
	s_delay_alu instid0(VALU_DEP_1) | instskip(NEXT) | instid1(VALU_DEP_4)
	v_fmac_f32_e32 v20, -0.5, v2
	v_fmamk_f32 v2, v4, 0xbf5db3d7, v19
	v_fmac_f32_e32 v19, 0x3f5db3d7, v4
	s_delay_alu instid0(VALU_DEP_3)
	v_fmamk_f32 v3, v5, 0x3f5db3d7, v20
	v_fmac_f32_e32 v20, 0xbf5db3d7, v5
	s_wait_loadcnt 0x0
	ds_store_2addr_b64 v6, v[0:1], v[2:3] offset1:50
	ds_store_b64 v6, v[19:20] offset:800
	global_wb scope:SCOPE_SE
	s_wait_dscnt 0x0
	s_barrier_signal -1
	s_barrier_wait -1
	global_inv scope:SCOPE_SE
	ds_load_2addr_b64 v[0:3], v219 offset0:70 offset1:205
	ds_load_2addr_b64 v[4:7], v177 offset0:12 offset1:147
	s_wait_dscnt 0x1
	v_mul_f32_e32 v8, v57, v1
	v_mul_f32_e32 v12, v61, v3
	s_wait_dscnt 0x0
	v_mul_f32_e32 v10, v59, v5
	v_mul_f32_e32 v26, v63, v7
	v_fmac_f32_e32 v8, v56, v0
	v_mul_f32_e32 v0, v57, v0
	v_fmac_f32_e32 v12, v60, v2
	v_fmac_f32_e32 v10, v58, v4
	v_fmac_f32_e32 v26, v62, v6
	s_delay_alu instid0(VALU_DEP_4) | instskip(SKIP_1) | instid1(VALU_DEP_1)
	v_fma_f32 v9, v56, v1, -v0
	v_mul_f32_e32 v0, v59, v4
	v_fma_f32 v11, v58, v5, -v0
	v_mul_f32_e32 v0, v61, v2
	s_delay_alu instid0(VALU_DEP_1) | instskip(SKIP_1) | instid1(VALU_DEP_1)
	v_fma_f32 v25, v60, v3, -v0
	v_mul_f32_e32 v0, v63, v6
	v_fma_f32 v27, v62, v7, -v0
	ds_load_2addr_b64 v[0:3], v178 offset0:84 offset1:219
	ds_load_2addr_b64 v[4:7], v222 offset0:26 offset1:161
	s_wait_dscnt 0x1
	v_mul_f32_e32 v28, v81, v1
	v_mul_f32_e32 v32, v65, v3
	s_wait_dscnt 0x0
	v_mul_f32_e32 v30, v83, v5
	v_mul_f32_e32 v34, v67, v7
	v_fmac_f32_e32 v28, v80, v0
	v_mul_f32_e32 v0, v81, v0
	v_fmac_f32_e32 v32, v64, v2
	v_fmac_f32_e32 v30, v82, v4
	;; [unrolled: 1-line block ×3, first 2 shown]
	s_delay_alu instid0(VALU_DEP_4) | instskip(SKIP_1) | instid1(VALU_DEP_1)
	v_fma_f32 v29, v80, v1, -v0
	v_mul_f32_e32 v0, v83, v4
	v_fma_f32 v31, v82, v5, -v0
	v_mul_f32_e32 v0, v65, v2
	s_delay_alu instid0(VALU_DEP_1) | instskip(SKIP_1) | instid1(VALU_DEP_1)
	v_fma_f32 v33, v64, v3, -v0
	v_mul_f32_e32 v0, v67, v6
	v_fma_f32 v35, v66, v7, -v0
	ds_load_2addr_b64 v[0:3], v179 offset0:98 offset1:233
	ds_load_2addr_b64 v[4:7], v149 offset0:40 offset1:175
	s_wait_dscnt 0x1
	v_mul_f32_e32 v36, v85, v1
	v_mul_f32_e32 v40, v69, v3
	s_wait_dscnt 0x0
	v_mul_f32_e32 v38, v87, v5
	v_mul_f32_e32 v42, v71, v7
	v_fmac_f32_e32 v36, v84, v0
	v_mul_f32_e32 v0, v85, v0
	v_fmac_f32_e32 v40, v68, v2
	v_fmac_f32_e32 v38, v86, v4
	v_fmac_f32_e32 v42, v70, v6
	s_delay_alu instid0(VALU_DEP_4) | instskip(SKIP_1) | instid1(VALU_DEP_1)
	v_fma_f32 v37, v84, v1, -v0
	v_mul_f32_e32 v0, v87, v4
	v_fma_f32 v39, v86, v5, -v0
	v_mul_f32_e32 v0, v69, v2
	v_sub_f32_e32 v69, v8, v10
	s_delay_alu instid0(VALU_DEP_2) | instskip(SKIP_2) | instid1(VALU_DEP_2)
	v_fma_f32 v41, v68, v3, -v0
	v_mul_f32_e32 v0, v71, v6
	v_sub_f32_e32 v68, v9, v11
	v_fma_f32 v43, v70, v7, -v0
	ds_load_2addr_b64 v[0:3], v218 offset0:112 offset1:247
	ds_load_2addr_b64 v[4:7], v156 offset0:54 offset1:189
	s_wait_dscnt 0x1
	v_mul_f32_e32 v44, v89, v1
	v_mul_f32_e32 v56, v73, v3
	s_wait_dscnt 0x0
	v_mul_f32_e32 v46, v91, v5
	v_mul_f32_e32 v58, v75, v7
	v_fmac_f32_e32 v44, v88, v0
	v_mul_f32_e32 v0, v89, v0
	v_fmac_f32_e32 v56, v72, v2
	v_fmac_f32_e32 v46, v90, v4
	;; [unrolled: 1-line block ×3, first 2 shown]
	s_delay_alu instid0(VALU_DEP_4) | instskip(SKIP_1) | instid1(VALU_DEP_1)
	v_fma_f32 v45, v88, v1, -v0
	v_mul_f32_e32 v0, v91, v4
	v_fma_f32 v47, v90, v5, -v0
	v_mul_f32_e32 v0, v73, v2
	s_delay_alu instid0(VALU_DEP_1) | instskip(SKIP_1) | instid1(VALU_DEP_1)
	v_fma_f32 v57, v72, v3, -v0
	v_mul_f32_e32 v0, v75, v6
	v_fma_f32 v59, v74, v7, -v0
	ds_load_2addr_b64 v[0:3], v221 offset0:62 offset1:197
	ds_load_2addr_b64 v[4:7], v223 offset0:68 offset1:203
	s_wait_dscnt 0x1
	v_mul_f32_e32 v60, v77, v1
	v_mul_f32_e32 v64, v245, v3
	s_wait_dscnt 0x0
	v_mul_f32_e32 v62, v79, v5
	v_mul_f32_e32 v66, v247, v7
	v_fmac_f32_e32 v60, v76, v0
	v_mul_f32_e32 v0, v77, v0
	v_fmac_f32_e32 v64, v244, v2
	v_fmac_f32_e32 v62, v78, v4
	;; [unrolled: 1-line block ×3, first 2 shown]
	s_delay_alu instid0(VALU_DEP_4) | instskip(SKIP_1) | instid1(VALU_DEP_1)
	v_fma_f32 v61, v76, v1, -v0
	v_mul_f32_e32 v0, v79, v4
	v_fma_f32 v63, v78, v5, -v0
	v_mul_f32_e32 v0, v245, v2
	v_add_f32_e32 v5, v9, v11
	s_delay_alu instid0(VALU_DEP_2) | instskip(SKIP_1) | instid1(VALU_DEP_1)
	v_fma_f32 v65, v244, v3, -v0
	v_mul_f32_e32 v0, v247, v6
	v_fma_f32 v67, v246, v7, -v0
	ds_load_2addr_b64 v[0:3], v93 offset1:135
	s_wait_dscnt 0x0
	v_add_f32_e32 v4, v1, v9
	v_fma_f32 v1, -0.5, v5, v1
	s_delay_alu instid0(VALU_DEP_2) | instskip(SKIP_1) | instid1(VALU_DEP_3)
	v_add_f32_e32 v22, v4, v11
	v_add_f32_e32 v4, v0, v8
	v_fmamk_f32 v24, v69, 0x3f5db3d7, v1
	v_fmac_f32_e32 v1, 0xbf5db3d7, v69
	s_delay_alu instid0(VALU_DEP_3) | instskip(SKIP_1) | instid1(VALU_DEP_1)
	v_add_f32_e32 v21, v4, v10
	v_add_f32_e32 v4, v8, v10
	v_fma_f32 v0, -0.5, v4, v0
	ds_load_2addr_b64 v[4:7], v183 offset0:14 offset1:149
	ds_load_2addr_b64 v[8:11], v232 offset0:28 offset1:163
	;; [unrolled: 1-line block ×4, first 2 shown]
	global_wb scope:SCOPE_SE
	s_wait_dscnt 0x0
	s_barrier_signal -1
	s_barrier_wait -1
	v_fmamk_f32 v23, v68, 0xbf5db3d7, v0
	global_inv scope:SCOPE_SE
	v_fmac_f32_e32 v0, 0x3f5db3d7, v68
	ds_store_2addr_b64 v93, v[21:22], v[23:24] offset1:150
	scratch_load_b32 v24, off, off offset:300 th:TH_LOAD_LU ; 4-byte Folded Reload
	ds_store_b64 v93, v[0:1] offset:2400
	v_add_f32_e32 v0, v12, v26
	v_dual_add_f32 v22, v25, v27 :: v_dual_add_f32 v21, v2, v12
	v_dual_sub_f32 v23, v25, v27 :: v_dual_sub_f32 v12, v12, v26
	s_delay_alu instid0(VALU_DEP_3) | instskip(NEXT) | instid1(VALU_DEP_3)
	v_fma_f32 v2, -0.5, v0, v2
	v_dual_add_f32 v0, v3, v25 :: v_dual_fmac_f32 v3, -0.5, v22
	s_delay_alu instid0(VALU_DEP_1) | instskip(NEXT) | instid1(VALU_DEP_3)
	v_dual_add_f32 v1, v0, v27 :: v_dual_add_f32 v0, v21, v26
	v_fmamk_f32 v21, v23, 0xbf5db3d7, v2
	s_delay_alu instid0(VALU_DEP_3)
	v_fmamk_f32 v22, v12, 0x3f5db3d7, v3
	v_fmac_f32_e32 v2, 0x3f5db3d7, v23
	v_dual_fmac_f32 v3, 0xbf5db3d7, v12 :: v_dual_sub_f32 v12, v29, v31
	s_wait_loadcnt 0x0
	ds_store_2addr_b64 v24, v[0:1], v[21:22] offset1:150
	scratch_load_b32 v22, off, off offset:296 th:TH_LOAD_LU ; 4-byte Folded Reload
	ds_store_b64 v24, v[2:3] offset:2400
	v_add_f32_e32 v2, v28, v30
	v_add_f32_e32 v0, v5, v29
	;; [unrolled: 1-line block ×3, first 2 shown]
	v_sub_f32_e32 v21, v28, v30
	s_delay_alu instid0(VALU_DEP_4) | instskip(NEXT) | instid1(VALU_DEP_4)
	v_fma_f32 v2, -0.5, v2, v4
	v_add_f32_e32 v1, v0, v31
	v_add_f32_e32 v0, v4, v28
	v_fma_f32 v3, -0.5, v3, v5
	s_delay_alu instid0(VALU_DEP_4)
	v_fmamk_f32 v4, v12, 0xbf5db3d7, v2
	v_fmac_f32_e32 v2, 0x3f5db3d7, v12
	scratch_load_b32 v12, off, off offset:292 th:TH_LOAD_LU ; 4-byte Folded Reload
	v_dual_add_f32 v0, v0, v30 :: v_dual_fmamk_f32 v5, v21, 0x3f5db3d7, v3
	v_fmac_f32_e32 v3, 0xbf5db3d7, v21
	s_wait_loadcnt 0x1
	ds_store_2addr_b64 v22, v[0:1], v[4:5] offset1:150
	ds_store_b64 v22, v[2:3] offset:2400
	v_dual_add_f32 v0, v32, v34 :: v_dual_add_f32 v3, v33, v35
	v_add_f32_e32 v2, v6, v32
	v_dual_sub_f32 v4, v33, v35 :: v_dual_sub_f32 v5, v32, v34
	s_delay_alu instid0(VALU_DEP_3) | instskip(NEXT) | instid1(VALU_DEP_4)
	v_fma_f32 v6, -0.5, v0, v6
	v_dual_add_f32 v0, v7, v33 :: v_dual_fmac_f32 v7, -0.5, v3
	s_delay_alu instid0(VALU_DEP_1) | instskip(NEXT) | instid1(VALU_DEP_3)
	v_dual_add_f32 v1, v0, v35 :: v_dual_add_f32 v0, v2, v34
	v_fmamk_f32 v2, v4, 0xbf5db3d7, v6
	s_delay_alu instid0(VALU_DEP_3)
	v_dual_fmamk_f32 v3, v5, 0x3f5db3d7, v7 :: v_dual_fmac_f32 v6, 0x3f5db3d7, v4
	v_fmac_f32_e32 v7, 0xbf5db3d7, v5
	s_wait_loadcnt 0x0
	ds_store_2addr_b64 v12, v[0:1], v[2:3] offset1:150
	v_add_f32_e32 v0, v9, v37
	v_add_f32_e32 v2, v36, v38
	ds_store_b64 v12, v[6:7] offset:2400
	v_sub_f32_e32 v6, v37, v39
	v_add_f32_e32 v3, v37, v39
	v_add_f32_e32 v1, v0, v39
	v_add_f32_e32 v0, v8, v36
	v_fma_f32 v2, -0.5, v2, v8
	scratch_load_b32 v8, off, off offset:288 th:TH_LOAD_LU ; 4-byte Folded Reload
	v_fma_f32 v3, -0.5, v3, v9
	v_sub_f32_e32 v7, v36, v38
	v_add_f32_e32 v0, v0, v38
	v_fmamk_f32 v4, v6, 0xbf5db3d7, v2
	v_fmac_f32_e32 v2, 0x3f5db3d7, v6
	scratch_load_b32 v6, off, off offset:284 th:TH_LOAD_LU ; 4-byte Folded Reload
	v_fmamk_f32 v5, v7, 0x3f5db3d7, v3
	v_fmac_f32_e32 v3, 0xbf5db3d7, v7
	v_sub_f32_e32 v7, v44, v46
	s_wait_loadcnt 0x1
	ds_store_2addr_b64 v8, v[0:1], v[4:5] offset1:150
	ds_store_b64 v8, v[2:3] offset:2400
	scratch_load_b32 v8, off, off offset:280 th:TH_LOAD_LU ; 4-byte Folded Reload
	v_dual_add_f32 v0, v40, v42 :: v_dual_add_f32 v3, v41, v43
	v_add_f32_e32 v2, v10, v40
	v_dual_sub_f32 v4, v41, v43 :: v_dual_sub_f32 v5, v40, v42
	s_delay_alu instid0(VALU_DEP_3) | instskip(NEXT) | instid1(VALU_DEP_4)
	v_fma_f32 v10, -0.5, v0, v10
	v_dual_add_f32 v0, v11, v41 :: v_dual_fmac_f32 v11, -0.5, v3
	s_delay_alu instid0(VALU_DEP_1) | instskip(NEXT) | instid1(VALU_DEP_3)
	v_dual_add_f32 v1, v0, v43 :: v_dual_add_f32 v0, v2, v42
	v_fmamk_f32 v2, v4, 0xbf5db3d7, v10
	s_delay_alu instid0(VALU_DEP_3)
	v_dual_fmamk_f32 v3, v5, 0x3f5db3d7, v11 :: v_dual_fmac_f32 v10, 0x3f5db3d7, v4
	v_fmac_f32_e32 v11, 0xbf5db3d7, v5
	s_wait_loadcnt 0x1
	ds_store_2addr_b64 v6, v[0:1], v[2:3] offset1:150
	v_add_f32_e32 v2, v44, v46
	ds_store_b64 v6, v[10:11] offset:2400
	v_sub_f32_e32 v6, v45, v47
	v_dual_add_f32 v0, v14, v45 :: v_dual_add_f32 v3, v45, v47
	v_fma_f32 v2, -0.5, v2, v13
	s_delay_alu instid0(VALU_DEP_2) | instskip(NEXT) | instid1(VALU_DEP_2)
	v_dual_add_f32 v1, v0, v47 :: v_dual_add_f32 v0, v13, v44
	v_fmamk_f32 v4, v6, 0xbf5db3d7, v2
	v_fmac_f32_e32 v2, 0x3f5db3d7, v6
	scratch_load_b32 v6, off, off offset:272 th:TH_LOAD_LU ; 4-byte Folded Reload
	v_fma_f32 v3, -0.5, v3, v14
	s_delay_alu instid0(VALU_DEP_1)
	v_dual_add_f32 v0, v0, v46 :: v_dual_fmamk_f32 v5, v7, 0x3f5db3d7, v3
	v_fmac_f32_e32 v3, 0xbf5db3d7, v7
	v_sub_f32_e32 v7, v60, v62
	s_wait_loadcnt 0x1
	ds_store_2addr_b64 v8, v[0:1], v[4:5] offset1:150
	ds_store_b64 v8, v[2:3] offset:2400
	scratch_load_b32 v8, off, off offset:268 th:TH_LOAD_LU ; 4-byte Folded Reload
	v_dual_add_f32 v0, v56, v58 :: v_dual_add_f32 v3, v57, v59
	v_add_f32_e32 v2, v15, v56
	v_dual_sub_f32 v4, v57, v59 :: v_dual_sub_f32 v5, v56, v58
	s_delay_alu instid0(VALU_DEP_3) | instskip(SKIP_2) | instid1(VALU_DEP_2)
	v_fma_f32 v15, -0.5, v0, v15
	v_add_f32_e32 v0, v16, v57
	v_fmac_f32_e32 v16, -0.5, v3
	v_dual_add_f32 v1, v0, v59 :: v_dual_add_f32 v0, v2, v58
	s_delay_alu instid0(VALU_DEP_4) | instskip(NEXT) | instid1(VALU_DEP_3)
	v_fmamk_f32 v2, v4, 0xbf5db3d7, v15
	v_fmamk_f32 v3, v5, 0x3f5db3d7, v16
	v_fmac_f32_e32 v15, 0x3f5db3d7, v4
	v_fmac_f32_e32 v16, 0xbf5db3d7, v5
	s_wait_loadcnt 0x1
	ds_store_2addr_b64 v6, v[0:1], v[2:3] offset1:150
	v_add_f32_e32 v2, v60, v62
	ds_store_b64 v6, v[15:16] offset:2400
	v_sub_f32_e32 v6, v61, v63
	v_add_f32_e32 v3, v61, v63
	v_add_f32_e32 v0, v17, v60
	v_fma_f32 v2, -0.5, v2, v17
	v_add_f32_e32 v1, v18, v61
	s_delay_alu instid0(VALU_DEP_4) | instskip(NEXT) | instid1(VALU_DEP_4)
	v_fma_f32 v3, -0.5, v3, v18
	v_add_f32_e32 v0, v0, v62
	s_delay_alu instid0(VALU_DEP_4)
	v_fmamk_f32 v4, v6, 0xbf5db3d7, v2
	v_fmac_f32_e32 v2, 0x3f5db3d7, v6
	scratch_load_b32 v6, off, off offset:264 th:TH_LOAD_LU ; 4-byte Folded Reload
	v_add_f32_e32 v1, v1, v63
	v_fmamk_f32 v5, v7, 0x3f5db3d7, v3
	v_fmac_f32_e32 v3, 0xbf5db3d7, v7
	s_wait_loadcnt 0x1
	ds_store_2addr_b64 v8, v[0:1], v[4:5] offset1:150
	v_add_f32_e32 v0, v64, v66
	ds_store_b64 v8, v[2:3] offset:2400
	v_dual_add_f32 v2, v19, v64 :: v_dual_add_f32 v1, v20, v65
	v_sub_f32_e32 v4, v65, v67
	v_fma_f32 v19, -0.5, v0, v19
	v_dual_add_f32 v0, v65, v67 :: v_dual_sub_f32 v5, v64, v66
	s_delay_alu instid0(VALU_DEP_4) | instskip(NEXT) | instid1(VALU_DEP_2)
	v_add_f32_e32 v1, v1, v67
	v_dual_fmac_f32 v20, -0.5, v0 :: v_dual_add_nc_u32 v67, 0x2c00, v93
	v_add_f32_e32 v0, v2, v66
	v_fmamk_f32 v2, v4, 0xbf5db3d7, v19
	v_fmac_f32_e32 v19, 0x3f5db3d7, v4
	s_delay_alu instid0(VALU_DEP_4)
	v_fmamk_f32 v3, v5, 0x3f5db3d7, v20
	v_fmac_f32_e32 v20, 0xbf5db3d7, v5
	s_wait_loadcnt 0x0
	ds_store_2addr_b64 v6, v[0:1], v[2:3] offset0:16 offset1:166
	scratch_load_b32 v0, off, off offset:260 th:TH_LOAD_LU ; 4-byte Folded Reload
	s_wait_loadcnt 0x0
	ds_store_b64 v0, v[19:20] offset:31200
	global_wb scope:SCOPE_SE
	s_wait_dscnt 0x0
	s_barrier_signal -1
	s_barrier_wait -1
	global_inv scope:SCOPE_SE
	scratch_load_b128 v[6:9], off, off offset:412 th:TH_LOAD_LU ; 16-byte Folded Reload
	ds_load_2addr_b64 v[0:3], v219 offset0:70 offset1:205
	s_wait_loadcnt_dscnt 0x0
	v_mul_f32_e32 v12, v7, v1
	s_delay_alu instid0(VALU_DEP_1) | instskip(SKIP_1) | instid1(VALU_DEP_1)
	v_fmac_f32_e32 v12, v6, v0
	v_mul_f32_e32 v0, v7, v0
	v_fma_f32 v18, v6, v1, -v0
	ds_load_2addr_b64 v[4:7], v177 offset0:12 offset1:147
	s_wait_dscnt 0x0
	v_mul_f32_e32 v21, v9, v5
	v_mul_f32_e32 v0, v9, v4
	s_delay_alu instid0(VALU_DEP_2) | instskip(NEXT) | instid1(VALU_DEP_2)
	v_fmac_f32_e32 v21, v8, v4
	v_fma_f32 v19, v8, v5, -v0
	scratch_load_b128 v[8:11], off, off offset:348 th:TH_LOAD_LU ; 16-byte Folded Reload
	v_add_f32_e32 v23, v18, v19
	v_sub_f32_e32 v24, v18, v19
	s_wait_loadcnt 0x0
	v_mul_f32_e32 v0, v9, v2
	v_mul_f32_e32 v39, v9, v3
	;; [unrolled: 1-line block ×3, first 2 shown]
	s_delay_alu instid0(VALU_DEP_3) | instskip(SKIP_1) | instid1(VALU_DEP_4)
	v_fma_f32 v40, v8, v3, -v0
	v_mul_f32_e32 v0, v11, v6
	v_fmac_f32_e32 v39, v8, v2
	s_delay_alu instid0(VALU_DEP_4) | instskip(NEXT) | instid1(VALU_DEP_3)
	v_fmac_f32_e32 v41, v10, v6
	v_fma_f32 v42, v10, v7, -v0
	ds_load_2addr_b64 v[0:3], v178 offset0:84 offset1:219
	ds_load_2addr_b64 v[4:7], v222 offset0:26 offset1:161
	s_wait_dscnt 0x1
	v_mul_f32_e32 v43, v101, v1
	s_wait_dscnt 0x0
	v_mul_f32_e32 v57, v99, v7
	v_mul_f32_e32 v47, v97, v3
	;; [unrolled: 1-line block ×3, first 2 shown]
	v_fmac_f32_e32 v43, v100, v0
	s_delay_alu instid0(VALU_DEP_4) | instskip(NEXT) | instid1(VALU_DEP_4)
	v_dual_mul_f32 v0, v101, v0 :: v_dual_fmac_f32 v57, v98, v6
	v_fmac_f32_e32 v47, v96, v2
	s_delay_alu instid0(VALU_DEP_4) | instskip(NEXT) | instid1(VALU_DEP_3)
	v_fmac_f32_e32 v45, v102, v4
	v_fma_f32 v44, v100, v1, -v0
	v_mul_f32_e32 v0, v103, v4
	s_delay_alu instid0(VALU_DEP_1) | instskip(SKIP_1) | instid1(VALU_DEP_1)
	v_fma_f32 v46, v102, v5, -v0
	v_mul_f32_e32 v0, v97, v2
	v_fma_f32 v56, v96, v3, -v0
	v_mul_f32_e32 v0, v99, v6
	s_delay_alu instid0(VALU_DEP_1) | instskip(SKIP_4) | instid1(VALU_DEP_1)
	v_fma_f32 v58, v98, v7, -v0
	scratch_load_b128 v[6:9], off, off offset:480 th:TH_LOAD_LU ; 16-byte Folded Reload
	ds_load_2addr_b64 v[0:3], v179 offset0:98 offset1:233
	s_wait_loadcnt_dscnt 0x0
	v_mul_f32_e32 v20, v7, v1
	v_fmac_f32_e32 v20, v6, v0
	v_mul_f32_e32 v0, v7, v0
	s_delay_alu instid0(VALU_DEP_1) | instskip(SKIP_4) | instid1(VALU_DEP_2)
	v_fma_f32 v16, v6, v1, -v0
	ds_load_2addr_b64 v[4:7], v149 offset0:40 offset1:175
	s_wait_dscnt 0x0
	v_mul_f32_e32 v17, v9, v5
	v_mul_f32_e32 v0, v9, v4
	v_fmac_f32_e32 v17, v8, v4
	s_delay_alu instid0(VALU_DEP_2)
	v_fma_f32 v59, v8, v5, -v0
	scratch_load_b128 v[8:11], off, off offset:464 th:TH_LOAD_LU ; 16-byte Folded Reload
	s_wait_loadcnt 0x0
	v_mul_f32_e32 v0, v9, v2
	v_mul_f32_e32 v60, v9, v3
	;; [unrolled: 1-line block ×3, first 2 shown]
	s_delay_alu instid0(VALU_DEP_3) | instskip(SKIP_1) | instid1(VALU_DEP_4)
	v_fma_f32 v61, v8, v3, -v0
	v_mul_f32_e32 v0, v11, v6
	v_fmac_f32_e32 v60, v8, v2
	s_delay_alu instid0(VALU_DEP_4) | instskip(NEXT) | instid1(VALU_DEP_3)
	v_fmac_f32_e32 v62, v10, v6
	v_fma_f32 v63, v10, v7, -v0
	ds_load_2addr_b64 v[0:3], v218 offset0:112 offset1:247
	ds_load_2addr_b64 v[4:7], v156 offset0:54 offset1:189
	;; [unrolled: 1-line block ×3, first 2 shown]
	s_wait_dscnt 0x2
	v_mul_f32_e32 v64, v53, v1
	s_delay_alu instid0(VALU_DEP_1) | instskip(SKIP_2) | instid1(VALU_DEP_1)
	v_fmac_f32_e32 v64, v52, v0
	s_wait_dscnt 0x1
	v_dual_mul_f32 v0, v53, v0 :: v_dual_mul_f32 v53, v55, v5
	v_fma_f32 v52, v52, v1, -v0
	v_mul_f32_e32 v0, v55, v4
	s_delay_alu instid0(VALU_DEP_3) | instskip(SKIP_1) | instid1(VALU_DEP_3)
	v_fmac_f32_e32 v53, v54, v4
	v_mul_f32_e32 v1, v49, v2
	v_fma_f32 v54, v54, v5, -v0
	v_mul_f32_e32 v0, v49, v3
	s_delay_alu instid0(VALU_DEP_1) | instskip(NEXT) | instid1(VALU_DEP_4)
	v_fmac_f32_e32 v0, v48, v2
	v_fma_f32 v48, v48, v3, -v1
	v_mul_f32_e32 v3, v51, v7
	v_mul_f32_e32 v1, v51, v6
	s_delay_alu instid0(VALU_DEP_2) | instskip(NEXT) | instid1(VALU_DEP_2)
	v_fmac_f32_e32 v3, v50, v6
	v_fma_f32 v13, v50, v7, -v1
	ds_load_2addr_b64 v[4:7], v221 offset0:62 offset1:197
	s_wait_dscnt 0x0
	v_mul_f32_e32 v2, v249, v4
	v_mul_f32_e32 v1, v249, v5
	s_delay_alu instid0(VALU_DEP_2) | instskip(SKIP_1) | instid1(VALU_DEP_3)
	v_fma_f32 v5, v248, v5, -v2
	v_mul_f32_e32 v2, v251, v8
	v_dual_fmac_f32 v1, v248, v4 :: v_dual_mul_f32 v4, v251, v9
	s_delay_alu instid0(VALU_DEP_2) | instskip(SKIP_1) | instid1(VALU_DEP_3)
	v_fma_f32 v14, v250, v9, -v2
	v_mul_f32_e32 v2, v253, v7
	v_fmac_f32_e32 v4, v250, v8
	v_mul_f32_e32 v8, v255, v10
	s_delay_alu instid0(VALU_DEP_3) | instskip(SKIP_1) | instid1(VALU_DEP_3)
	v_fmac_f32_e32 v2, v252, v6
	v_mul_f32_e32 v6, v253, v6
	v_fma_f32 v15, v254, v11, -v8
	s_delay_alu instid0(VALU_DEP_2) | instskip(SKIP_1) | instid1(VALU_DEP_1)
	v_fma_f32 v7, v252, v7, -v6
	v_mul_f32_e32 v6, v255, v11
	v_fmac_f32_e32 v6, v254, v10
	ds_load_2addr_b64 v[8:11], v93 offset1:135
	s_wait_dscnt 0x0
	v_add_f32_e32 v22, v9, v18
	v_add_f32_e32 v18, v8, v12
	v_fma_f32 v9, -0.5, v23, v9
	s_delay_alu instid0(VALU_DEP_3) | instskip(SKIP_1) | instid1(VALU_DEP_4)
	v_dual_add_f32 v19, v22, v19 :: v_dual_add_f32 v22, v12, v21
	v_sub_f32_e32 v12, v12, v21
	v_add_f32_e32 v18, v18, v21
	s_delay_alu instid0(VALU_DEP_3) | instskip(NEXT) | instid1(VALU_DEP_3)
	v_fma_f32 v8, -0.5, v22, v8
	v_fmamk_f32 v38, v12, 0x3f5db3d7, v9
	v_dual_fmac_f32 v9, 0xbf5db3d7, v12 :: v_dual_sub_f32 v12, v39, v41
	s_delay_alu instid0(VALU_DEP_3)
	v_fmamk_f32 v37, v24, 0xbf5db3d7, v8
	v_fmac_f32_e32 v8, 0x3f5db3d7, v24
	ds_load_2addr_b64 v[21:24], v183 offset0:14 offset1:149
	ds_load_2addr_b64 v[25:28], v232 offset0:28 offset1:163
	;; [unrolled: 1-line block ×4, first 2 shown]
	global_wb scope:SCOPE_SE
	s_wait_dscnt 0x0
	s_barrier_signal -1
	s_barrier_wait -1
	global_inv scope:SCOPE_SE
	ds_store_b64 v93, v[37:38] offset:3600
	ds_store_b64 v93, v[8:9] offset:7200
	v_dual_add_f32 v8, v10, v39 :: v_dual_add_f32 v9, v11, v40
	v_dual_sub_f32 v37, v44, v46 :: v_dual_sub_f32 v38, v43, v45
	s_delay_alu instid0(VALU_DEP_2) | instskip(SKIP_3) | instid1(VALU_DEP_2)
	v_dual_add_f32 v8, v8, v41 :: v_dual_add_f32 v9, v9, v42
	ds_store_2addr_b64 v93, v[18:19], v[8:9] offset1:135
	v_dual_add_f32 v8, v21, v43 :: v_dual_add_f32 v9, v22, v44
	v_add_f32_e32 v18, v43, v45
	v_dual_add_f32 v8, v8, v45 :: v_dual_add_f32 v9, v9, v46
	s_delay_alu instid0(VALU_DEP_2) | instskip(SKIP_4) | instid1(VALU_DEP_3)
	v_fma_f32 v18, -0.5, v18, v21
	ds_store_b64 v93, v[8:9] offset:2160
	v_dual_add_f32 v8, v39, v41 :: v_dual_sub_f32 v9, v40, v42
	v_fmamk_f32 v21, v37, 0xbf5db3d7, v18
	v_fmac_f32_e32 v18, 0x3f5db3d7, v37
	v_fma_f32 v10, -0.5, v8, v10
	v_add_f32_e32 v8, v40, v42
	s_delay_alu instid0(VALU_DEP_1) | instskip(SKIP_1) | instid1(VALU_DEP_1)
	v_dual_fmac_f32 v11, -0.5, v8 :: v_dual_fmamk_f32 v8, v9, 0xbf5db3d7, v10
	v_dual_fmac_f32 v10, 0x3f5db3d7, v9 :: v_dual_add_f32 v9, v44, v46
	v_fma_f32 v19, -0.5, v9, v22
	s_delay_alu instid0(VALU_DEP_3) | instskip(SKIP_1) | instid1(VALU_DEP_3)
	v_fmamk_f32 v9, v12, 0x3f5db3d7, v11
	v_dual_fmac_f32 v11, 0xbf5db3d7, v12 :: v_dual_sub_f32 v12, v56, v58
	v_fmamk_f32 v22, v38, 0x3f5db3d7, v19
	v_fmac_f32_e32 v19, 0xbf5db3d7, v38
	ds_store_2addr_b64 v224, v[10:11], v[18:19] offset0:11 offset1:146
	ds_store_2addr_b64 v232, v[8:9], v[21:22] offset0:73 offset1:208
	scratch_load_b32 v19, off, off offset:256 th:TH_LOAD_LU ; 4-byte Folded Reload
	v_add_f32_e32 v8, v47, v57
	v_dual_add_f32 v10, v23, v47 :: v_dual_add_f32 v9, v24, v56
	v_sub_f32_e32 v18, v47, v57
	v_add_f32_e32 v21, v27, v60
	s_delay_alu instid0(VALU_DEP_4) | instskip(SKIP_2) | instid1(VALU_DEP_2)
	v_fma_f32 v23, -0.5, v8, v23
	v_add_f32_e32 v8, v56, v58
	v_dual_add_f32 v9, v9, v58 :: v_dual_add_f32 v22, v28, v61
	v_fmac_f32_e32 v24, -0.5, v8
	v_add_f32_e32 v8, v10, v57
	v_fmamk_f32 v10, v12, 0xbf5db3d7, v23
	v_dual_fmac_f32 v23, 0x3f5db3d7, v12 :: v_dual_sub_f32 v12, v20, v17
	s_delay_alu instid0(VALU_DEP_4)
	v_fmamk_f32 v11, v18, 0x3f5db3d7, v24
	v_fmac_f32_e32 v24, 0xbf5db3d7, v18
	s_wait_loadcnt 0x0
	ds_store_b64 v19, v[8:9]
	v_add_f32_e32 v8, v20, v17
	v_add_f32_e32 v9, v16, v59
	ds_store_b64 v19, v[23:24] offset:7200
	ds_store_b64 v19, v[10:11] offset:3600
	v_sub_f32_e32 v11, v16, v59
	v_fma_f32 v8, -0.5, v8, v25
	v_fma_f32 v9, -0.5, v9, v26
	s_delay_alu instid0(VALU_DEP_2) | instskip(NEXT) | instid1(VALU_DEP_2)
	v_fmamk_f32 v10, v11, 0xbf5db3d7, v8
	v_dual_fmac_f32 v8, 0x3f5db3d7, v11 :: v_dual_fmamk_f32 v11, v12, 0x3f5db3d7, v9
	v_dual_fmac_f32 v9, 0xbf5db3d7, v12 :: v_dual_add_f32 v12, v60, v62
	s_delay_alu instid0(VALU_DEP_1) | instskip(SKIP_1) | instid1(VALU_DEP_1)
	v_fma_f32 v27, -0.5, v12, v27
	v_add_f32_e32 v12, v61, v63
	v_fmac_f32_e32 v28, -0.5, v12
	v_sub_f32_e32 v12, v61, v63
	s_delay_alu instid0(VALU_DEP_1) | instskip(SKIP_1) | instid1(VALU_DEP_1)
	v_fmamk_f32 v18, v12, 0xbf5db3d7, v27
	v_dual_fmac_f32 v27, 0x3f5db3d7, v12 :: v_dual_sub_f32 v12, v60, v62
	v_fmamk_f32 v19, v12, 0x3f5db3d7, v28
	v_fmac_f32_e32 v28, 0xbf5db3d7, v12
	v_add_nc_u32_e32 v12, 0x4800, v93
	ds_store_2addr_b64 v12, v[8:9], v[27:28] offset0:36 offset1:171
	v_add_f32_e32 v8, v25, v20
	v_dual_add_f32 v9, v26, v16 :: v_dual_add_f32 v16, v21, v62
	v_sub_f32_e32 v12, v52, v54
	s_delay_alu instid0(VALU_DEP_2)
	v_dual_add_f32 v8, v8, v17 :: v_dual_add_f32 v9, v9, v59
	v_add_f32_e32 v17, v22, v63
	ds_store_2addr_b64 v67, v[8:9], v[16:17] offset0:32 offset1:167
	ds_store_2addr_b64 v179, v[10:11], v[18:19] offset0:98 offset1:233
	scratch_load_b32 v19, off, off offset:276 th:TH_LOAD_LU ; 4-byte Folded Reload
	v_add_f32_e32 v11, v52, v54
	v_add_f32_e32 v10, v64, v53
	;; [unrolled: 1-line block ×3, first 2 shown]
	v_dual_add_f32 v9, v30, v52 :: v_dual_sub_f32 v18, v64, v53
	s_delay_alu instid0(VALU_DEP_4) | instskip(NEXT) | instid1(VALU_DEP_4)
	v_fma_f32 v11, -0.5, v11, v30
	v_fma_f32 v10, -0.5, v10, v29
	s_delay_alu instid0(VALU_DEP_3) | instskip(NEXT) | instid1(VALU_DEP_3)
	v_dual_add_f32 v8, v8, v53 :: v_dual_add_f32 v9, v9, v54
	v_fmamk_f32 v17, v18, 0x3f5db3d7, v11
	s_delay_alu instid0(VALU_DEP_3)
	v_fmamk_f32 v16, v12, 0xbf5db3d7, v10
	v_fmac_f32_e32 v10, 0x3f5db3d7, v12
	v_dual_fmac_f32 v11, 0xbf5db3d7, v18 :: v_dual_sub_f32 v12, v48, v13
	s_wait_loadcnt 0x0
	ds_store_b64 v19, v[8:9]
	v_add_f32_e32 v8, v0, v3
	v_add_f32_e32 v9, v32, v48
	ds_store_b64 v19, v[16:17] offset:3600
	ds_store_b64 v19, v[10:11] offset:7200
	v_add_f32_e32 v10, v31, v0
	v_sub_f32_e32 v0, v0, v3
	v_fma_f32 v31, -0.5, v8, v31
	v_add_f32_e32 v8, v48, v13
	v_add_f32_e32 v9, v9, v13
	scratch_load_b32 v13, off, off offset:308 th:TH_LOAD_LU ; 4-byte Folded Reload
	v_fmac_f32_e32 v32, -0.5, v8
	v_add_f32_e32 v8, v10, v3
	v_fmamk_f32 v10, v12, 0xbf5db3d7, v31
	v_fmac_f32_e32 v31, 0x3f5db3d7, v12
	v_add_f32_e32 v3, v34, v5
	v_fmamk_f32 v11, v0, 0x3f5db3d7, v32
	v_fmac_f32_e32 v32, 0xbf5db3d7, v0
	v_add_f32_e32 v0, v33, v1
	s_wait_loadcnt 0x0
	ds_store_b64 v13, v[8:9] offset:21600
	ds_store_b64 v13, v[31:32] offset:28800
	;; [unrolled: 1-line block ×3, first 2 shown]
	scratch_load_b32 v10, off, off offset:328 th:TH_LOAD_LU ; 4-byte Folded Reload
	v_dual_add_f32 v8, v0, v4 :: v_dual_add_f32 v9, v3, v14
	v_add_f32_e32 v0, v5, v14
	v_sub_f32_e32 v3, v5, v14
	v_add_f32_e32 v5, v1, v4
	v_sub_f32_e32 v4, v1, v4
	s_wait_loadcnt 0x0
	ds_store_b64 v10, v[8:9] offset:21600
	v_fma_f32 v8, -0.5, v5, v33
	v_add_f32_e32 v5, v2, v6
	v_fma_f32 v9, -0.5, v0, v34
	s_delay_alu instid0(VALU_DEP_3) | instskip(SKIP_1) | instid1(VALU_DEP_4)
	v_fmamk_f32 v0, v3, 0xbf5db3d7, v8
	v_dual_fmac_f32 v8, 0x3f5db3d7, v3 :: v_dual_add_f32 v3, v35, v2
	v_fma_f32 v35, -0.5, v5, v35
	v_add_f32_e32 v5, v7, v15
	v_fmamk_f32 v1, v4, 0x3f5db3d7, v9
	v_dual_fmac_f32 v9, 0xbf5db3d7, v4 :: v_dual_add_f32 v4, v36, v7
	v_sub_f32_e32 v2, v2, v6
	s_delay_alu instid0(VALU_DEP_4) | instskip(SKIP_1) | instid1(VALU_DEP_4)
	v_dual_fmac_f32 v36, -0.5, v5 :: v_dual_add_f32 v3, v3, v6
	v_sub_f32_e32 v7, v7, v15
	v_add_f32_e32 v4, v4, v15
	ds_store_b64 v10, v[8:9] offset:28800
	v_fmamk_f32 v6, v2, 0x3f5db3d7, v36
	v_fmac_f32_e32 v36, 0xbf5db3d7, v2
	scratch_load_b32 v2, off, off offset:304 th:TH_LOAD_LU ; 4-byte Folded Reload
	v_fmamk_f32 v5, v7, 0xbf5db3d7, v35
	v_fmac_f32_e32 v35, 0x3f5db3d7, v7
	s_wait_loadcnt 0x0
	ds_store_b64 v2, v[35:36] offset:28800
	ds_store_b64 v10, v[0:1] offset:25200
	;; [unrolled: 1-line block ×4, first 2 shown]
	global_wb scope:SCOPE_SE
	s_wait_dscnt 0x0
	s_barrier_signal -1
	s_barrier_wait -1
	global_inv scope:SCOPE_SE
	scratch_load_b128 v[6:9], off, off offset:332 th:TH_LOAD_LU ; 16-byte Folded Reload
	ds_load_2addr_b64 v[0:3], v219 offset0:70 offset1:205
	ds_load_2addr_b64 v[13:16], v223 offset0:68 offset1:203
	s_wait_dscnt 0x0
	v_mul_f32_e32 v55, v119, v14
	v_mul_f32_e32 v59, v115, v16
	s_delay_alu instid0(VALU_DEP_2) | instskip(SKIP_1) | instid1(VALU_DEP_2)
	v_fmac_f32_e32 v55, v118, v13
	s_wait_loadcnt 0x0
	v_dual_fmac_f32 v59, v114, v15 :: v_dual_mul_f32 v12, v7, v1
	s_delay_alu instid0(VALU_DEP_1) | instskip(SKIP_1) | instid1(VALU_DEP_1)
	v_fmac_f32_e32 v12, v6, v0
	v_mul_f32_e32 v0, v7, v0
	v_fma_f32 v17, v6, v1, -v0
	ds_load_2addr_b64 v[4:7], v177 offset0:12 offset1:147
	s_wait_dscnt 0x0
	v_mul_f32_e32 v18, v9, v5
	v_mul_f32_e32 v0, v9, v4
	s_delay_alu instid0(VALU_DEP_2) | instskip(NEXT) | instid1(VALU_DEP_2)
	v_fmac_f32_e32 v18, v8, v4
	v_fma_f32 v19, v8, v5, -v0
	scratch_load_b128 v[8:11], off, off offset:312 th:TH_LOAD_LU ; 16-byte Folded Reload
	s_wait_loadcnt 0x0
	v_mul_f32_e32 v0, v9, v2
	v_mul_f32_e32 v33, v9, v3
	;; [unrolled: 1-line block ×3, first 2 shown]
	s_delay_alu instid0(VALU_DEP_3) | instskip(SKIP_1) | instid1(VALU_DEP_4)
	v_fma_f32 v34, v8, v3, -v0
	v_mul_f32_e32 v0, v11, v6
	v_fmac_f32_e32 v33, v8, v2
	s_delay_alu instid0(VALU_DEP_4) | instskip(NEXT) | instid1(VALU_DEP_3)
	v_fmac_f32_e32 v35, v10, v6
	v_fma_f32 v36, v10, v7, -v0
	ds_load_2addr_b64 v[0:3], v178 offset0:84 offset1:219
	ds_load_2addr_b64 v[4:7], v222 offset0:26 offset1:161
	;; [unrolled: 1-line block ×3, first 2 shown]
	s_wait_dscnt 0x2
	v_mul_f32_e32 v37, v109, v1
	v_mul_f32_e32 v41, v105, v3
	s_wait_dscnt 0x1
	v_mul_f32_e32 v39, v111, v5
	v_mul_f32_e32 v43, v107, v7
	v_fmac_f32_e32 v37, v108, v0
	v_dual_mul_f32 v0, v109, v0 :: v_dual_fmac_f32 v41, v104, v2
	s_delay_alu instid0(VALU_DEP_4) | instskip(NEXT) | instid1(VALU_DEP_4)
	v_fmac_f32_e32 v39, v110, v4
	v_fmac_f32_e32 v43, v106, v6
	s_delay_alu instid0(VALU_DEP_3) | instskip(SKIP_1) | instid1(VALU_DEP_1)
	v_fma_f32 v38, v108, v1, -v0
	v_mul_f32_e32 v0, v111, v4
	v_fma_f32 v40, v110, v5, -v0
	v_mul_f32_e32 v0, v105, v2
	s_delay_alu instid0(VALU_DEP_1) | instskip(SKIP_1) | instid1(VALU_DEP_1)
	v_fma_f32 v42, v104, v3, -v0
	v_mul_f32_e32 v0, v107, v6
	v_fma_f32 v44, v106, v7, -v0
	ds_load_2addr_b64 v[0:3], v179 offset0:98 offset1:233
	ds_load_2addr_b64 v[4:7], v149 offset0:40 offset1:175
	s_wait_dscnt 0x1
	v_mul_f32_e32 v45, v133, v1
	s_wait_dscnt 0x0
	v_mul_f32_e32 v47, v135, v5
	v_mul_f32_e32 v51, v127, v7
	;; [unrolled: 1-line block ×3, first 2 shown]
	v_fmac_f32_e32 v45, v132, v0
	v_mul_f32_e32 v0, v133, v0
	v_fmac_f32_e32 v47, v134, v4
	v_fmac_f32_e32 v51, v126, v6
	;; [unrolled: 1-line block ×3, first 2 shown]
	s_delay_alu instid0(VALU_DEP_4) | instskip(SKIP_2) | instid1(VALU_DEP_2)
	v_fma_f32 v46, v132, v1, -v0
	v_mul_f32_e32 v0, v135, v4
	v_mul_f32_e32 v1, v131, v8
	v_fma_f32 v48, v134, v5, -v0
	v_mul_f32_e32 v0, v125, v2
	s_delay_alu instid0(VALU_DEP_3) | instskip(NEXT) | instid1(VALU_DEP_2)
	v_fma_f32 v1, v130, v9, -v1
	v_fma_f32 v50, v124, v3, -v0
	v_mul_f32_e32 v0, v127, v6
	s_delay_alu instid0(VALU_DEP_1)
	v_fma_f32 v52, v126, v7, -v0
	ds_load_2addr_b64 v[4:7], v218 offset0:112 offset1:247
	s_wait_dscnt 0x0
	v_mul_f32_e32 v0, v129, v4
	v_mul_f32_e32 v2, v121, v6
	;; [unrolled: 1-line block ×4, first 2 shown]
	s_delay_alu instid0(VALU_DEP_4) | instskip(SKIP_4) | instid1(VALU_DEP_4)
	v_fma_f32 v5, v128, v5, -v0
	v_mul_f32_e32 v0, v131, v9
	v_fma_f32 v54, v120, v7, -v2
	v_dual_mul_f32 v2, v123, v11 :: v_dual_fmac_f32 v3, v128, v4
	v_mul_f32_e32 v4, v123, v10
	v_dual_fmac_f32 v0, v130, v8 :: v_dual_fmac_f32 v53, v120, v6
	s_delay_alu instid0(VALU_DEP_3) | instskip(SKIP_4) | instid1(VALU_DEP_1)
	v_fmac_f32_e32 v2, v122, v10
	ds_load_2addr_b64 v[7:10], v221 offset0:62 offset1:197
	v_fma_f32 v4, v122, v11, -v4
	s_wait_dscnt 0x0
	v_mul_f32_e32 v6, v117, v8
	v_dual_mul_f32 v57, v113, v10 :: v_dual_fmac_f32 v6, v116, v7
	v_mul_f32_e32 v7, v117, v7
	s_delay_alu instid0(VALU_DEP_2) | instskip(NEXT) | instid1(VALU_DEP_2)
	v_fmac_f32_e32 v57, v112, v9
	v_fma_f32 v11, v116, v8, -v7
	v_mul_f32_e32 v7, v119, v13
	s_delay_alu instid0(VALU_DEP_1) | instskip(SKIP_2) | instid1(VALU_DEP_2)
	v_fma_f32 v56, v118, v14, -v7
	v_mul_f32_e32 v7, v113, v9
	v_add_f32_e32 v14, v17, v19
	v_fma_f32 v58, v112, v10, -v7
	v_mul_f32_e32 v7, v115, v15
	v_sub_f32_e32 v15, v17, v19
	s_delay_alu instid0(VALU_DEP_2) | instskip(SKIP_4) | instid1(VALU_DEP_2)
	v_fma_f32 v60, v114, v16, -v7
	ds_load_2addr_b64 v[7:10], v93 offset1:135
	s_wait_dscnt 0x0
	v_add_f32_e32 v13, v8, v17
	v_fma_f32 v8, -0.5, v14, v8
	v_dual_add_f32 v30, v13, v19 :: v_dual_add_f32 v13, v7, v12
	s_delay_alu instid0(VALU_DEP_1) | instskip(SKIP_2) | instid1(VALU_DEP_2)
	v_add_f32_e32 v29, v13, v18
	v_add_f32_e32 v13, v12, v18
	v_sub_f32_e32 v12, v12, v18
	v_fma_f32 v7, -0.5, v13, v7
	s_delay_alu instid0(VALU_DEP_2) | instskip(SKIP_1) | instid1(VALU_DEP_3)
	v_fmamk_f32 v32, v12, 0x3f5db3d7, v8
	v_fmac_f32_e32 v8, 0xbf5db3d7, v12
	v_dual_sub_f32 v12, v33, v35 :: v_dual_fmamk_f32 v31, v15, 0xbf5db3d7, v7
	v_fmac_f32_e32 v7, 0x3f5db3d7, v15
	ds_load_2addr_b64 v[13:16], v183 offset0:14 offset1:149
	ds_load_2addr_b64 v[17:20], v232 offset0:28 offset1:163
	;; [unrolled: 1-line block ×4, first 2 shown]
	ds_store_b64 v93, v[31:32] offset:10800
	ds_store_b64 v93, v[7:8] offset:21600
	v_dual_add_f32 v7, v9, v33 :: v_dual_add_f32 v8, v10, v34
	s_delay_alu instid0(VALU_DEP_1) | instskip(SKIP_3) | instid1(VALU_DEP_2)
	v_dual_add_f32 v7, v7, v35 :: v_dual_add_f32 v8, v8, v36
	ds_store_2addr_b64 v93, v[29:30], v[7:8] offset1:135
	v_dual_add_f32 v7, v33, v35 :: v_dual_sub_f32 v8, v34, v36
	v_dual_add_f32 v30, v38, v40 :: v_dual_add_nc_u32 v33, 0x4400, v93
	v_fma_f32 v9, -0.5, v7, v9
	v_add_f32_e32 v7, v34, v36
	s_wait_dscnt 0x6
	s_delay_alu instid0(VALU_DEP_3) | instskip(NEXT) | instid1(VALU_DEP_2)
	v_fma_f32 v30, -0.5, v30, v14
	v_dual_fmac_f32 v10, -0.5, v7 :: v_dual_fmamk_f32 v7, v8, 0xbf5db3d7, v9
	s_delay_alu instid0(VALU_DEP_1) | instskip(SKIP_2) | instid1(VALU_DEP_1)
	v_dual_fmac_f32 v9, 0x3f5db3d7, v8 :: v_dual_fmamk_f32 v8, v12, 0x3f5db3d7, v10
	v_fmac_f32_e32 v10, 0xbf5db3d7, v12
	v_add_f32_e32 v12, v37, v39
	v_fma_f32 v29, -0.5, v12, v13
	v_sub_f32_e32 v12, v38, v40
	s_delay_alu instid0(VALU_DEP_1) | instskip(SKIP_1) | instid1(VALU_DEP_1)
	v_fmamk_f32 v31, v12, 0xbf5db3d7, v29
	v_dual_fmac_f32 v29, 0x3f5db3d7, v12 :: v_dual_sub_f32 v12, v37, v39
	v_fmamk_f32 v32, v12, 0x3f5db3d7, v30
	v_fmac_f32_e32 v30, 0xbf5db3d7, v12
	v_add_nc_u32_e32 v12, 0x5800, v93
	ds_store_2addr_b64 v12, v[9:10], v[29:30] offset0:19 offset1:154
	ds_store_2addr_b64 v67, v[7:8], v[31:32] offset0:77 offset1:212
	v_dual_add_f32 v7, v13, v37 :: v_dual_add_f32 v8, v14, v38
	v_dual_add_f32 v9, v15, v41 :: v_dual_add_f32 v10, v16, v42
	s_delay_alu instid0(VALU_DEP_2) | instskip(NEXT) | instid1(VALU_DEP_2)
	v_dual_sub_f32 v12, v46, v48 :: v_dual_add_f32 v7, v7, v39
	v_dual_add_f32 v8, v8, v40 :: v_dual_add_f32 v9, v9, v43
	s_delay_alu instid0(VALU_DEP_3) | instskip(SKIP_4) | instid1(VALU_DEP_2)
	v_dual_add_f32 v10, v10, v44 :: v_dual_sub_f32 v29, v53, v2
	v_dual_sub_f32 v30, v11, v56 :: v_dual_sub_f32 v31, v6, v55
	ds_store_2addr_b64 v183, v[7:8], v[9:10] offset0:14 offset1:149
	v_dual_add_f32 v7, v41, v43 :: v_dual_sub_f32 v8, v42, v44
	v_dual_sub_f32 v9, v41, v43 :: v_dual_add_f32 v10, v46, v48
	v_fma_f32 v15, -0.5, v7, v15
	v_add_f32_e32 v7, v42, v44
	s_wait_dscnt 0x8
	s_delay_alu instid0(VALU_DEP_3) | instskip(NEXT) | instid1(VALU_DEP_2)
	v_fma_f32 v10, -0.5, v10, v18
	v_dual_fmac_f32 v16, -0.5, v7 :: v_dual_fmamk_f32 v7, v8, 0xbf5db3d7, v15
	s_delay_alu instid0(VALU_DEP_1) | instskip(SKIP_1) | instid1(VALU_DEP_1)
	v_dual_fmac_f32 v15, 0x3f5db3d7, v8 :: v_dual_fmamk_f32 v8, v9, 0x3f5db3d7, v16
	v_dual_fmac_f32 v16, 0xbf5db3d7, v9 :: v_dual_add_f32 v9, v45, v47
	v_fma_f32 v9, -0.5, v9, v17
	s_delay_alu instid0(VALU_DEP_1) | instskip(SKIP_1) | instid1(VALU_DEP_1)
	v_fmamk_f32 v13, v12, 0xbf5db3d7, v9
	v_dual_fmac_f32 v9, 0x3f5db3d7, v12 :: v_dual_sub_f32 v12, v45, v47
	v_fmamk_f32 v14, v12, 0x3f5db3d7, v10
	v_fmac_f32_e32 v10, 0xbf5db3d7, v12
	v_add_nc_u32_e32 v12, 0x6000, v93
	ds_store_2addr_b64 v12, v[15:16], v[9:10] offset0:33 offset1:168
	v_dual_add_f32 v10, v20, v50 :: v_dual_add_nc_u32 v9, 0x3400, v93
	v_sub_f32_e32 v12, v5, v1
	v_add_nc_u32_e32 v15, 0x3c00, v93
	ds_store_2addr_b64 v9, v[7:8], v[13:14] offset0:91 offset1:226
	v_dual_add_f32 v7, v17, v45 :: v_dual_add_f32 v8, v18, v46
	v_dual_add_f32 v9, v19, v49 :: v_dual_add_f32 v10, v10, v52
	v_sub_f32_e32 v17, v3, v0
	s_delay_alu instid0(VALU_DEP_3) | instskip(SKIP_1) | instid1(VALU_DEP_3)
	v_dual_add_f32 v7, v7, v47 :: v_dual_add_f32 v8, v8, v48
	s_wait_dscnt 0x9
	v_dual_add_f32 v9, v9, v51 :: v_dual_add_f32 v18, v23, v53
	ds_store_2addr_b64 v232, v[7:8], v[9:10] offset0:28 offset1:163
	v_dual_add_f32 v7, v49, v51 :: v_dual_sub_f32 v8, v50, v52
	v_sub_f32_e32 v9, v49, v51
	v_add_f32_e32 v10, v5, v1
	v_add_f32_e32 v5, v22, v5
	s_delay_alu instid0(VALU_DEP_4) | instskip(SKIP_1) | instid1(VALU_DEP_4)
	v_fma_f32 v19, -0.5, v7, v19
	v_add_f32_e32 v7, v50, v52
	v_fma_f32 v10, -0.5, v10, v22
	s_delay_alu instid0(VALU_DEP_2) | instskip(NEXT) | instid1(VALU_DEP_4)
	v_dual_add_f32 v1, v5, v1 :: v_dual_fmac_f32 v20, -0.5, v7
	v_fmamk_f32 v7, v8, 0xbf5db3d7, v19
	s_delay_alu instid0(VALU_DEP_3) | instskip(SKIP_1) | instid1(VALU_DEP_4)
	v_dual_fmac_f32 v19, 0x3f5db3d7, v8 :: v_dual_fmamk_f32 v14, v17, 0x3f5db3d7, v10
	v_fmac_f32_e32 v10, 0xbf5db3d7, v17
	v_fmamk_f32 v8, v9, 0x3f5db3d7, v20
	v_dual_fmac_f32 v20, 0xbf5db3d7, v9 :: v_dual_add_f32 v9, v3, v0
	v_add_f32_e32 v3, v21, v3
	ds_store_b64 v93, v[19:20] offset:27000
	v_fma_f32 v9, -0.5, v9, v21
	v_dual_add_f32 v19, v24, v54 :: v_dual_sub_f32 v20, v54, v4
	s_delay_alu instid0(VALU_DEP_2) | instskip(SKIP_2) | instid1(VALU_DEP_3)
	v_dual_add_f32 v0, v3, v0 :: v_dual_fmamk_f32 v13, v12, 0xbf5db3d7, v9
	s_wait_dscnt 0xa
	v_dual_fmac_f32 v9, 0x3f5db3d7, v12 :: v_dual_add_f32 v12, v27, v57
	v_add_f32_e32 v3, v19, v4
	ds_store_2addr_b64 v15, v[7:8], v[13:14] offset0:105 offset1:240
	v_dual_add_f32 v7, v53, v2 :: v_dual_add_f32 v8, v11, v56
	v_add_f32_e32 v2, v18, v2
	s_delay_alu instid0(VALU_DEP_2) | instskip(SKIP_1) | instid1(VALU_DEP_4)
	v_fma_f32 v23, -0.5, v7, v23
	v_add_f32_e32 v7, v54, v4
	v_fma_f32 v8, -0.5, v8, v26
	ds_store_2addr_b64 v220, v[0:1], v[2:3] offset0:42 offset1:177
	v_add_f32_e32 v2, v12, v59
	v_dual_fmamk_f32 v13, v20, 0xbf5db3d7, v23 :: v_dual_fmac_f32 v24, -0.5, v7
	v_add_f32_e32 v7, v6, v55
	v_dual_fmac_f32 v23, 0x3f5db3d7, v20 :: v_dual_fmamk_f32 v16, v31, 0x3f5db3d7, v8
	v_fmac_f32_e32 v8, 0xbf5db3d7, v31
	s_delay_alu instid0(VALU_DEP_4)
	v_fmamk_f32 v14, v29, 0x3f5db3d7, v24
	v_fmac_f32_e32 v24, 0xbf5db3d7, v29
	v_fma_f32 v7, -0.5, v7, v25
	v_add_f32_e32 v6, v25, v6
	ds_store_2addr_b64 v156, v[9:10], v[23:24] offset0:54 offset1:189
	v_add_f32_e32 v9, v57, v59
	v_fmamk_f32 v15, v30, 0xbf5db3d7, v7
	v_dual_sub_f32 v10, v58, v60 :: v_dual_fmac_f32 v7, 0x3f5db3d7, v30
	v_add_f32_e32 v0, v6, v55
	s_delay_alu instid0(VALU_DEP_4)
	v_fma_f32 v27, -0.5, v9, v27
	v_add_f32_e32 v9, v58, v60
	ds_store_2addr_b64 v33, v[13:14], v[15:16] offset0:119 offset1:254
	v_dual_add_f32 v13, v28, v58 :: v_dual_sub_f32 v14, v57, v59
	v_dual_fmac_f32 v28, -0.5, v9 :: v_dual_fmamk_f32 v9, v10, 0xbf5db3d7, v27
	v_fmac_f32_e32 v27, 0x3f5db3d7, v10
	s_delay_alu instid0(VALU_DEP_2) | instskip(SKIP_3) | instid1(VALU_DEP_1)
	v_dual_add_f32 v3, v13, v60 :: v_dual_fmamk_f32 v10, v14, 0x3f5db3d7, v28
	v_fmac_f32_e32 v28, 0xbf5db3d7, v14
	ds_store_2addr_b64 v223, v[7:8], v[27:28] offset0:68 offset1:203
	v_add_f32_e32 v7, v26, v11
	v_add_f32_e32 v1, v7, v56
	ds_store_2addr_b64 v224, v[0:1], v[2:3] offset0:56 offset1:191
	ds_store_b64 v93, v[9:10] offset:20520
	global_wb scope:SCOPE_SE
	s_wait_dscnt 0x0
	s_barrier_signal -1
	s_barrier_wait -1
	global_inv scope:SCOPE_SE
	scratch_load_b64 v[5:6], off, off offset:240 th:TH_LOAD_LU ; 8-byte Folded Reload
	ds_load_2addr_b64 v[1:4], v93 offset1:135
	s_clause 0x4
	scratch_load_b64 v[9:10], off, off offset:200 th:TH_LOAD_LU
	scratch_load_b64 v[17:18], off, off offset:216 th:TH_LOAD_LU
	;; [unrolled: 1-line block ×5, first 2 shown]
	s_wait_loadcnt_dscnt 0x500
	v_mul_f32_e32 v0, v6, v2
	s_delay_alu instid0(VALU_DEP_1) | instskip(SKIP_1) | instid1(VALU_DEP_1)
	v_fmac_f32_e32 v0, v5, v1
	v_mul_f32_e32 v1, v6, v1
	v_fma_f32 v1, v5, v2, -v1
	scratch_load_b64 v[5:6], off, off offset:224 th:TH_LOAD_LU ; 8-byte Folded Reload
	s_wait_loadcnt 0x0
	v_mul_f32_e32 v2, v6, v4
	s_delay_alu instid0(VALU_DEP_1) | instskip(SKIP_1) | instid1(VALU_DEP_1)
	v_fmac_f32_e32 v2, v5, v3
	v_mul_f32_e32 v3, v6, v3
	v_fma_f32 v4, v5, v4, -v3
	ds_load_2addr_b64 v[5:8], v220 offset0:42 offset1:177
	v_cvt_f64_f32_e32 v[45:46], v4
	s_wait_dscnt 0x0
	v_mul_f32_e32 v14, v10, v6
	v_mul_f32_e32 v3, v10, v5
	s_delay_alu instid0(VALU_DEP_2) | instskip(NEXT) | instid1(VALU_DEP_2)
	v_fmac_f32_e32 v14, v9, v5
	v_fma_f32 v16, v9, v6, -v3
	scratch_load_b64 v[9:10], off, off offset:232 th:TH_LOAD_LU ; 8-byte Folded Reload
	v_cvt_f64_f32_e32 v[33:34], v16
	s_wait_alu 0xfffe
	v_mul_f64_e32 v[45:46], s[2:3], v[45:46]
	s_delay_alu instid0(VALU_DEP_2) | instskip(SKIP_3) | instid1(VALU_DEP_2)
	v_mul_f64_e32 v[33:34], s[2:3], v[33:34]
	s_wait_loadcnt 0x0
	v_mul_f32_e32 v3, v10, v8
	v_mul_f32_e32 v5, v10, v7
	v_fmac_f32_e32 v3, v9, v7
	s_delay_alu instid0(VALU_DEP_2) | instskip(SKIP_4) | instid1(VALU_DEP_1)
	v_fma_f32 v5, v9, v8, -v5
	ds_load_2addr_b64 v[6:9], v178 offset0:84 offset1:219
	v_cvt_f64_f32_e32 v[4:5], v5
	s_wait_dscnt 0x0
	v_mul_f32_e32 v11, v13, v7
	v_fmac_f32_e32 v11, v12, v6
	v_mul_f32_e32 v6, v13, v6
	s_delay_alu instid0(VALU_DEP_1) | instskip(SKIP_2) | instid1(VALU_DEP_2)
	v_fma_f32 v13, v12, v7, -v6
	v_mul_f32_e32 v6, v18, v9
	v_mul_f32_e32 v7, v18, v8
	v_fmac_f32_e32 v6, v17, v8
	s_delay_alu instid0(VALU_DEP_2)
	v_fma_f32 v9, v17, v9, -v7
	ds_load_2addr_b64 v[17:20], v221 offset0:62 offset1:197
	v_mul_f64_e32 v[4:5], s[2:3], v[4:5]
	s_wait_dscnt 0x0
	v_mul_f32_e32 v37, v22, v18
	v_mul_f32_e32 v7, v22, v17
	scratch_load_b64 v[22:23], off, off offset:160 th:TH_LOAD_LU ; 8-byte Folded Reload
	v_fmac_f32_e32 v37, v21, v17
	v_fma_f32 v39, v21, v18, -v7
	scratch_load_b64 v[17:18], off, off offset:208 th:TH_LOAD_LU ; 8-byte Folded Reload
	s_wait_loadcnt 0x0
	v_mul_f32_e32 v7, v18, v20
	v_mul_f32_e32 v8, v18, v19
	s_delay_alu instid0(VALU_DEP_2) | instskip(NEXT) | instid1(VALU_DEP_2)
	v_fmac_f32_e32 v7, v17, v19
	v_fma_f32 v8, v17, v20, -v8
	ds_load_2addr_b64 v[17:20], v149 offset0:40 offset1:175
	s_wait_dscnt 0x0
	v_mul_f32_e32 v21, v23, v18
	v_mul_f32_e32 v10, v23, v17
	scratch_load_b64 v[23:24], off, off offset:152 th:TH_LOAD_LU ; 8-byte Folded Reload
	v_fmac_f32_e32 v21, v22, v17
	v_fma_f32 v22, v22, v18, -v10
	scratch_load_b64 v[17:18], off, off offset:184 th:TH_LOAD_LU ; 8-byte Folded Reload
	s_wait_loadcnt 0x0
	v_mul_f32_e32 v12, v18, v20
	v_mul_f32_e32 v10, v18, v19
	s_delay_alu instid0(VALU_DEP_2) | instskip(NEXT) | instid1(VALU_DEP_2)
	v_fmac_f32_e32 v12, v17, v19
	v_fma_f32 v15, v17, v20, -v10
	ds_load_2addr_b64 v[17:20], v183 offset0:14 offset1:149
	s_wait_dscnt 0x0
	v_mul_f32_e32 v29, v24, v20
	v_mul_f32_e32 v10, v24, v19
	s_delay_alu instid0(VALU_DEP_2) | instskip(NEXT) | instid1(VALU_DEP_2)
	v_fmac_f32_e32 v29, v23, v19
	v_fma_f32 v31, v23, v20, -v10
	scratch_load_b64 v[19:20], off, off offset:176 th:TH_LOAD_LU ; 8-byte Folded Reload
	ds_load_2addr_b64 v[23:26], v232 offset0:28 offset1:163
	v_cvt_f64_f32_e32 v[29:30], v29
	v_cvt_f64_f32_e32 v[31:32], v31
	s_delay_alu instid0(VALU_DEP_2) | instskip(NEXT) | instid1(VALU_DEP_2)
	v_mul_f64_e32 v[29:30], s[2:3], v[29:30]
	v_mul_f64_e32 v[31:32], s[2:3], v[31:32]
	s_delay_alu instid0(VALU_DEP_2) | instskip(NEXT) | instid1(VALU_DEP_2)
	v_cvt_f32_f64_e32 v29, v[29:30]
	v_cvt_f32_f64_e32 v30, v[31:32]
	s_wait_loadcnt 0x0
	v_mul_f32_e32 v10, v20, v18
	s_delay_alu instid0(VALU_DEP_1) | instskip(SKIP_1) | instid1(VALU_DEP_1)
	v_fmac_f32_e32 v10, v19, v17
	v_mul_f32_e32 v17, v20, v17
	v_fma_f32 v17, v19, v18, -v17
	scratch_load_b64 v[19:20], off, off offset:128 th:TH_LOAD_LU ; 8-byte Folded Reload
	s_wait_loadcnt_dscnt 0x0
	v_mul_f32_e32 v47, v20, v24
	v_mul_f32_e32 v18, v20, v23
	s_delay_alu instid0(VALU_DEP_2) | instskip(NEXT) | instid1(VALU_DEP_2)
	v_fmac_f32_e32 v47, v19, v23
	v_fma_f32 v48, v19, v24, -v18
	scratch_load_b64 v[23:24], off, off offset:136 th:TH_LOAD_LU ; 8-byte Folded Reload
	s_wait_loadcnt 0x0
	v_mul_f32_e32 v19, v24, v26
	v_mul_f32_e32 v18, v24, v25
	s_delay_alu instid0(VALU_DEP_2) | instskip(NEXT) | instid1(VALU_DEP_2)
	v_fmac_f32_e32 v19, v23, v25
	v_fma_f32 v18, v23, v26, -v18
	ds_load_2addr_b64 v[23:26], v224 offset0:56 offset1:191
	s_wait_dscnt 0x0
	v_mul_f32_e32 v35, v28, v26
	v_mul_f32_e32 v20, v28, v25
	s_delay_alu instid0(VALU_DEP_2) | instskip(NEXT) | instid1(VALU_DEP_2)
	v_fmac_f32_e32 v35, v27, v25
	v_fma_f32 v36, v27, v26, -v20
	s_clause 0x1
	scratch_load_b64 v[25:26], off, off offset:144 th:TH_LOAD_LU
	scratch_load_b64 v[27:28], off, off offset:96 th:TH_LOAD_LU
	v_cvt_f64_f32_e32 v[31:32], v36
	s_delay_alu instid0(VALU_DEP_1) | instskip(SKIP_2) | instid1(VALU_DEP_1)
	v_mul_f64_e32 v[31:32], s[2:3], v[31:32]
	s_wait_loadcnt 0x1
	v_mul_f32_e32 v20, v26, v24
	v_fmac_f32_e32 v20, v25, v23
	v_mul_f32_e32 v23, v26, v23
	s_delay_alu instid0(VALU_DEP_1) | instskip(SKIP_3) | instid1(VALU_DEP_1)
	v_fma_f32 v53, v25, v24, -v23
	ds_load_2addr_b64 v[23:26], v219 offset0:70 offset1:205
	s_wait_loadcnt_dscnt 0x0
	v_mul_f32_e32 v49, v28, v24
	v_fmac_f32_e32 v49, v27, v23
	v_mul_f32_e32 v23, v28, v23
	s_delay_alu instid0(VALU_DEP_1) | instskip(SKIP_4) | instid1(VALU_DEP_2)
	v_fma_f32 v50, v27, v24, -v23
	scratch_load_b64 v[27:28], off, off offset:104 th:TH_LOAD_LU ; 8-byte Folded Reload
	s_wait_loadcnt 0x0
	v_mul_f32_e32 v54, v28, v26
	v_mul_f32_e32 v23, v28, v25
	v_fmac_f32_e32 v54, v27, v25
	s_delay_alu instid0(VALU_DEP_2) | instskip(SKIP_4) | instid1(VALU_DEP_1)
	v_fma_f32 v55, v27, v26, -v23
	scratch_load_b64 v[27:28], off, off offset:24 th:TH_LOAD_LU ; 8-byte Folded Reload
	ds_load_2addr_b64 v[23:26], v179 offset0:98 offset1:233
	s_wait_loadcnt_dscnt 0x0
	v_mul_f32_e32 v38, v28, v26
	v_fmac_f32_e32 v38, v27, v25
	v_mul_f32_e32 v25, v28, v25
	s_delay_alu instid0(VALU_DEP_1)
	v_fma_f32 v40, v27, v26, -v25
	s_clause 0x1
	scratch_load_b64 v[25:26], off, off offset:112 th:TH_LOAD_LU
	scratch_load_b64 v[27:28], off, off offset:120 th:TH_LOAD_LU
	s_wait_loadcnt 0x1
	v_mul_f32_e32 v56, v26, v24
	s_delay_alu instid0(VALU_DEP_1) | instskip(SKIP_1) | instid1(VALU_DEP_1)
	v_fmac_f32_e32 v56, v25, v23
	v_mul_f32_e32 v23, v26, v23
	v_fma_f32 v57, v25, v24, -v23
	ds_load_2addr_b64 v[23:26], v218 offset0:112 offset1:247
	s_wait_loadcnt_dscnt 0x0
	v_mul_f32_e32 v51, v28, v24
	s_delay_alu instid0(VALU_DEP_1) | instskip(SKIP_1) | instid1(VALU_DEP_1)
	v_fmac_f32_e32 v51, v27, v23
	v_mul_f32_e32 v23, v28, v23
	v_fma_f32 v52, v27, v24, -v23
	scratch_load_b64 v[27:28], off, off offset:88 th:TH_LOAD_LU ; 8-byte Folded Reload
	s_wait_loadcnt 0x0
	v_mul_f32_e32 v58, v28, v26
	v_mul_f32_e32 v23, v28, v25
	s_delay_alu instid0(VALU_DEP_2) | instskip(NEXT) | instid1(VALU_DEP_2)
	v_fmac_f32_e32 v58, v27, v25
	v_fma_f32 v59, v27, v26, -v23
	scratch_load_b64 v[27:28], off, off offset:16 th:TH_LOAD_LU ; 8-byte Folded Reload
	ds_load_2addr_b64 v[23:26], v177 offset0:12 offset1:147
	s_wait_loadcnt_dscnt 0x0
	v_mul_f32_e32 v41, v28, v26
	s_delay_alu instid0(VALU_DEP_1) | instskip(SKIP_1) | instid1(VALU_DEP_1)
	v_fmac_f32_e32 v41, v27, v25
	v_mul_f32_e32 v25, v28, v25
	v_fma_f32 v42, v27, v26, -v25
	s_clause 0x1
	scratch_load_b64 v[25:26], off, off offset:64 th:TH_LOAD_LU
	scratch_load_b64 v[27:28], off, off offset:72 th:TH_LOAD_LU
	s_wait_loadcnt 0x1
	v_mul_f32_e32 v60, v26, v24
	s_delay_alu instid0(VALU_DEP_1) | instskip(SKIP_1) | instid1(VALU_DEP_1)
	v_fmac_f32_e32 v60, v25, v23
	v_mul_f32_e32 v23, v26, v23
	v_fma_f32 v61, v25, v24, -v23
	ds_load_2addr_b64 v[23:26], v222 offset0:26 offset1:161
	s_wait_loadcnt_dscnt 0x0
	v_mul_f32_e32 v62, v28, v24
	s_delay_alu instid0(VALU_DEP_1) | instskip(SKIP_1) | instid1(VALU_DEP_1)
	v_fmac_f32_e32 v62, v27, v23
	v_mul_f32_e32 v23, v28, v23
	v_fma_f32 v63, v27, v24, -v23
	scratch_load_b64 v[23:24], off, off offset:80 th:TH_LOAD_LU ; 8-byte Folded Reload
	s_wait_loadcnt 0x0
	v_mul_f32_e32 v64, v24, v26
	v_dual_mov_b32 v28, v24 :: v_dual_mov_b32 v27, v23
	s_delay_alu instid0(VALU_DEP_2) | instskip(NEXT) | instid1(VALU_DEP_2)
	v_fmac_f32_e32 v64, v23, v25
	v_mul_f32_e32 v23, v28, v25
	s_delay_alu instid0(VALU_DEP_1) | instskip(SKIP_4) | instid1(VALU_DEP_1)
	v_fma_f32 v65, v27, v26, -v23
	scratch_load_b64 v[27:28], off, off offset:8 th:TH_LOAD_LU ; 8-byte Folded Reload
	ds_load_2addr_b64 v[23:26], v156 offset0:54 offset1:189
	s_wait_loadcnt_dscnt 0x0
	v_mul_f32_e32 v43, v28, v26
	v_fmac_f32_e32 v43, v27, v25
	v_mul_f32_e32 v25, v28, v25
	s_delay_alu instid0(VALU_DEP_1)
	v_fma_f32 v44, v27, v26, -v25
	s_clause 0x1
	scratch_load_b64 v[25:26], off, off offset:32 th:TH_LOAD_LU
	scratch_load_b64 v[27:28], off, off offset:40 th:TH_LOAD_LU
	s_wait_loadcnt 0x1
	v_mul_f32_e32 v66, v26, v24
	s_delay_alu instid0(VALU_DEP_1) | instskip(SKIP_1) | instid1(VALU_DEP_1)
	v_fmac_f32_e32 v66, v25, v23
	v_mul_f32_e32 v23, v26, v23
	v_fma_f32 v67, v25, v24, -v23
	ds_load_2addr_b64 v[23:26], v223 offset0:68 offset1:203
	s_wait_loadcnt_dscnt 0x0
	v_mul_f32_e32 v68, v28, v24
	s_delay_alu instid0(VALU_DEP_1) | instskip(SKIP_1) | instid1(VALU_DEP_1)
	v_fmac_f32_e32 v68, v27, v23
	v_mul_f32_e32 v23, v28, v23
	v_fma_f32 v69, v27, v24, -v23
	scratch_load_b64 v[27:28], off, off offset:48 th:TH_LOAD_LU ; 8-byte Folded Reload
	s_wait_loadcnt 0x0
	v_mul_f32_e32 v70, v28, v26
	v_mul_f32_e32 v23, v28, v25
	s_delay_alu instid0(VALU_DEP_2) | instskip(NEXT) | instid1(VALU_DEP_2)
	v_fmac_f32_e32 v70, v27, v25
	v_fma_f32 v71, v27, v26, -v23
	s_clause 0x1
	scratch_load_b64 v[25:26], off, off th:TH_LOAD_LU
	scratch_load_b32 v27, off, off offset:252 th:TH_LOAD_LU
	s_wait_loadcnt 0x1
	v_mad_co_u64_u32 v[23:24], null, s6, v25, 0
	s_delay_alu instid0(VALU_DEP_1) | instskip(SKIP_2) | instid1(VALU_DEP_2)
	v_mad_co_u64_u32 v[24:25], null, s7, v25, v[24:25]
	s_wait_loadcnt 0x0
	v_mad_co_u64_u32 v[25:26], null, s4, v27, 0
	v_lshlrev_b64_e32 v[23:24], 3, v[23:24]
	s_delay_alu instid0(VALU_DEP_2) | instskip(SKIP_2) | instid1(VALU_DEP_3)
	v_mad_co_u64_u32 v[26:27], null, s5, v27, v[26:27]
	v_cvt_f64_f32_e32 v[27:28], v0
	v_cvt_f64_f32_e32 v[0:1], v1
	v_lshlrev_b64_e32 v[25:26], 3, v[25:26]
	s_delay_alu instid0(VALU_DEP_3) | instskip(NEXT) | instid1(VALU_DEP_3)
	v_mul_f64_e32 v[27:28], s[2:3], v[27:28]
	v_mul_f64_e32 v[0:1], s[2:3], v[0:1]
	s_delay_alu instid0(VALU_DEP_2) | instskip(NEXT) | instid1(VALU_DEP_2)
	v_cvt_f32_f64_e32 v27, v[27:28]
	v_cvt_f32_f64_e32 v28, v[0:1]
	v_cvt_f64_f32_e32 v[0:1], v14
	v_add_co_u32 v14, vcc_lo, s0, v23
	s_wait_alu 0xfffd
	v_add_co_ci_u32_e32 v16, vcc_lo, s1, v24, vcc_lo
	s_mul_u64 s[0:1], s[4:5], 0xca8
	s_delay_alu instid0(VALU_DEP_2) | instskip(SKIP_1) | instid1(VALU_DEP_2)
	v_add_co_u32 v23, vcc_lo, v14, v25
	s_wait_alu 0xfffd
	v_add_co_ci_u32_e32 v24, vcc_lo, v16, v26, vcc_lo
	v_cvt_f64_f32_e32 v[25:26], v35
	v_cvt_f64_f32_e32 v[35:36], v11
	;; [unrolled: 1-line block ×3, first 2 shown]
	s_mulk_i32 s5, 0x9250
	s_wait_alu 0xfffe
	s_sub_co_i32 s5, s5, s4
	global_store_b64 v[23:24], v[27:28], off
	v_mul_f64_e32 v[0:1], s[2:3], v[0:1]
	v_add_co_u32 v23, vcc_lo, v23, s0
	s_wait_alu 0xfffd
	v_add_co_ci_u32_e32 v24, vcc_lo, s1, v24, vcc_lo
	v_cvt_f64_f32_e32 v[27:28], v38
	v_cvt_f64_f32_e32 v[37:38], v37
	global_store_b64 v[23:24], v[29:30], off
	v_cvt_f64_f32_e32 v[29:30], v41
	v_cvt_f64_f32_e32 v[41:42], v42
	v_mul_f64_e32 v[25:26], s[2:3], v[25:26]
	v_mul_f64_e32 v[35:36], s[2:3], v[35:36]
	;; [unrolled: 1-line block ×3, first 2 shown]
	v_add_co_u32 v23, vcc_lo, v23, s0
	s_wait_alu 0xfffd
	v_add_co_ci_u32_e32 v24, vcc_lo, s1, v24, vcc_lo
	v_cvt_f32_f64_e32 v0, v[0:1]
	v_cvt_f32_f64_e32 v1, v[33:34]
	v_cvt_f64_f32_e32 v[33:34], v40
	v_cvt_f64_f32_e32 v[39:40], v39
	v_mul_f64_e32 v[27:28], s[2:3], v[27:28]
	v_mul_f64_e32 v[37:38], s[2:3], v[37:38]
	;; [unrolled: 1-line block ×4, first 2 shown]
	v_cvt_f32_f64_e32 v25, v[25:26]
	v_cvt_f32_f64_e32 v26, v[31:32]
	v_cvt_f64_f32_e32 v[31:32], v43
	global_store_b64 v[23:24], v[0:1], off
	v_mul_f64_e32 v[33:34], s[2:3], v[33:34]
	v_mul_f64_e32 v[39:40], s[2:3], v[39:40]
	v_add_co_u32 v0, vcc_lo, v23, s0
	s_wait_alu 0xfffd
	v_add_co_ci_u32_e32 v1, vcc_lo, s1, v24, vcc_lo
	v_cvt_f32_f64_e32 v23, v[35:36]
	v_cvt_f32_f64_e32 v24, v[13:14]
	v_cvt_f64_f32_e32 v[13:14], v21
	v_cvt_f64_f32_e32 v[21:22], v22
	;; [unrolled: 1-line block ×5, first 2 shown]
	v_cvt_f32_f64_e32 v27, v[27:28]
	v_cvt_f32_f64_e32 v29, v[29:30]
	;; [unrolled: 1-line block ×3, first 2 shown]
	v_cvt_f64_f32_e32 v[41:42], v49
	v_mul_f64_e32 v[31:32], s[2:3], v[31:32]
	global_store_b64 v[0:1], v[25:26], off
	v_add_co_u32 v0, vcc_lo, v0, s0
	s_wait_alu 0xfffd
	v_add_co_ci_u32_e32 v1, vcc_lo, s1, v1, vcc_lo
	v_cvt_f32_f64_e32 v28, v[33:34]
	v_cvt_f32_f64_e32 v33, v[37:38]
	;; [unrolled: 1-line block ×3, first 2 shown]
	v_cvt_f64_f32_e32 v[37:38], v47
	v_cvt_f64_f32_e32 v[39:40], v48
	;; [unrolled: 1-line block ×3, first 2 shown]
	global_store_b64 v[0:1], v[23:24], off
	v_mul_f64_e32 v[13:14], s[2:3], v[13:14]
	v_mul_f64_e32 v[21:22], s[2:3], v[21:22]
	;; [unrolled: 1-line block ×5, first 2 shown]
	v_add_co_u32 v0, vcc_lo, v0, s0
	s_wait_alu 0xfffd
	v_add_co_ci_u32_e32 v1, vcc_lo, s1, v1, vcc_lo
	v_mul_f64_e32 v[23:24], s[2:3], v[41:42]
	v_cvt_f64_f32_e32 v[41:42], v6
	v_cvt_f64_f32_e32 v[6:7], v7
	v_add_co_u32 v49, vcc_lo, v0, s0
	s_wait_alu 0xfffd
	v_add_co_ci_u32_e32 v50, vcc_lo, s1, v1, vcc_lo
	global_store_b64 v[0:1], v[27:28], off
	v_cvt_f32_f64_e32 v28, v[45:46]
	v_cvt_f64_f32_e32 v[45:46], v63
	v_mul_f64_e32 v[25:26], s[2:3], v[37:38]
	v_mul_f64_e32 v[37:38], s[2:3], v[39:40]
	;; [unrolled: 1-line block ×3, first 2 shown]
	v_cvt_f64_f32_e32 v[47:48], v9
	v_cvt_f64_f32_e32 v[8:9], v8
	v_cvt_f32_f64_e32 v13, v[13:14]
	v_cvt_f32_f64_e32 v14, v[21:22]
	;; [unrolled: 1-line block ×5, first 2 shown]
	v_cvt_f64_f32_e32 v[31:32], v51
	v_cvt_f64_f32_e32 v[35:36], v52
	;; [unrolled: 1-line block ×3, first 2 shown]
	v_cvt_f32_f64_e32 v2, v[2:3]
	v_cvt_f32_f64_e32 v3, v[4:5]
	v_cvt_f64_f32_e32 v[4:5], v12
	v_cvt_f64_f32_e32 v[11:12], v15
	v_add_co_u32 v0, vcc_lo, v49, s0
	s_wait_alu 0xfffd
	v_add_co_ci_u32_e32 v1, vcc_lo, s1, v50, vcc_lo
	v_cvt_f32_f64_e32 v23, v[23:24]
	s_delay_alu instid0(VALU_DEP_3) | instskip(SKIP_1) | instid1(VALU_DEP_3)
	v_add_co_u32 v51, vcc_lo, v0, s0
	s_wait_alu 0xfffd
	v_add_co_ci_u32_e32 v52, vcc_lo, s1, v1, vcc_lo
	global_store_b64 v[49:50], v[33:34], off
	v_add_co_u32 v15, vcc_lo, v51, s0
	s_wait_alu 0xfffd
	v_add_co_ci_u32_e32 v16, vcc_lo, s1, v52, vcc_lo
	global_store_b64 v[0:1], v[29:30], off
	v_mul_f64_e32 v[6:7], s[2:3], v[6:7]
	v_cvt_f64_f32_e32 v[49:50], v65
	v_mul_f64_e32 v[33:34], s[2:3], v[45:46]
	v_cvt_f32_f64_e32 v25, v[25:26]
	v_cvt_f32_f64_e32 v26, v[37:38]
	;; [unrolled: 1-line block ×3, first 2 shown]
	v_mul_f64_e32 v[37:38], s[2:3], v[41:42]
	v_mad_co_u64_u32 v[41:42], null, 0xffff9250, s4, v[15:16]
	v_mul_f64_e32 v[39:40], s[2:3], v[47:48]
	global_store_b64 v[51:52], v[13:14], off
	v_mul_f64_e32 v[8:9], s[2:3], v[8:9]
	global_store_b64 v[15:16], v[21:22], off
	v_mul_f64_e32 v[13:14], s[2:3], v[31:32]
	v_mul_f64_e32 v[29:30], s[2:3], v[35:36]
	s_wait_alu 0xfffe
	v_add_nc_u32_e32 v42, s5, v42
	v_add_co_u32 v0, vcc_lo, v41, s0
	v_mul_f64_e32 v[31:32], s[2:3], v[43:44]
	v_mul_f64_e32 v[4:5], s[2:3], v[4:5]
	s_wait_alu 0xfffd
	v_add_co_ci_u32_e32 v1, vcc_lo, s1, v42, vcc_lo
	v_add_co_u32 v35, vcc_lo, v0, s0
	v_mul_f64_e32 v[11:12], s[2:3], v[11:12]
	s_wait_alu 0xfffd
	s_delay_alu instid0(VALU_DEP_3) | instskip(NEXT) | instid1(VALU_DEP_3)
	v_add_co_ci_u32_e32 v36, vcc_lo, s1, v1, vcc_lo
	v_add_co_u32 v15, vcc_lo, v35, s0
	v_cvt_f64_f32_e32 v[21:22], v69
	s_wait_alu 0xfffd
	s_delay_alu instid0(VALU_DEP_3)
	v_add_co_ci_u32_e32 v16, vcc_lo, s1, v36, vcc_lo
	global_store_b64 v[41:42], v[27:28], off
	global_store_b64 v[0:1], v[25:26], off
	;; [unrolled: 1-line block ×4, first 2 shown]
	v_cvt_f64_f32_e32 v[2:3], v68
	v_cvt_f64_f32_e32 v[23:24], v10
	;; [unrolled: 1-line block ×7, first 2 shown]
	v_cvt_f32_f64_e32 v0, v[37:38]
	v_cvt_f32_f64_e32 v1, v[39:40]
	v_cvt_f64_f32_e32 v[37:38], v54
	v_cvt_f64_f32_e32 v[39:40], v55
	;; [unrolled: 1-line block ×4, first 2 shown]
	v_cvt_f32_f64_e32 v13, v[13:14]
	v_cvt_f32_f64_e32 v14, v[29:30]
	;; [unrolled: 1-line block ×4, first 2 shown]
	v_cvt_f64_f32_e32 v[8:9], v58
	v_cvt_f64_f32_e32 v[29:30], v59
	v_cvt_f32_f64_e32 v31, v[31:32]
	v_cvt_f32_f64_e32 v32, v[33:34]
	v_cvt_f64_f32_e32 v[33:34], v60
	v_cvt_f64_f32_e32 v[45:46], v61
	v_cvt_f32_f64_e32 v4, v[4:5]
	v_cvt_f32_f64_e32 v5, v[11:12]
	v_cvt_f64_f32_e32 v[10:11], v64
	v_cvt_f64_f32_e32 v[51:52], v66
	;; [unrolled: 1-line block ×5, first 2 shown]
	v_mul_f64_e32 v[21:22], s[2:3], v[21:22]
	v_add_co_u32 v15, vcc_lo, v15, s0
	s_wait_alu 0xfffd
	v_add_co_ci_u32_e32 v16, vcc_lo, s1, v16, vcc_lo
	s_delay_alu instid0(VALU_DEP_2)
	v_add_co_u32 v47, vcc_lo, v15, s0
	v_mul_f64_e32 v[2:3], s[2:3], v[2:3]
	v_mul_f64_e32 v[23:24], s[2:3], v[23:24]
	;; [unrolled: 1-line block ×7, first 2 shown]
	s_wait_alu 0xfffd
	v_add_co_ci_u32_e32 v48, vcc_lo, s1, v16, vcc_lo
	v_add_co_u32 v59, vcc_lo, v47, s0
	v_mul_f64_e32 v[37:38], s[2:3], v[37:38]
	s_wait_alu 0xfffd
	s_delay_alu instid0(VALU_DEP_3) | instskip(NEXT) | instid1(VALU_DEP_3)
	v_add_co_ci_u32_e32 v60, vcc_lo, s1, v48, vcc_lo
	v_add_co_u32 v61, vcc_lo, v59, s0
	v_mul_f64_e32 v[39:40], s[2:3], v[39:40]
	v_mul_f64_e32 v[41:42], s[2:3], v[41:42]
	;; [unrolled: 1-line block ×3, first 2 shown]
	s_wait_alu 0xfffd
	v_add_co_ci_u32_e32 v62, vcc_lo, s1, v60, vcc_lo
	v_mul_f64_e32 v[8:9], s[2:3], v[8:9]
	v_mul_f64_e32 v[29:30], s[2:3], v[29:30]
	global_store_b64 v[15:16], v[0:1], off
	global_store_b64 v[47:48], v[13:14], off
	;; [unrolled: 1-line block ×4, first 2 shown]
	v_mul_f64_e32 v[0:1], s[2:3], v[33:34]
	v_mul_f64_e32 v[6:7], s[2:3], v[45:46]
	;; [unrolled: 1-line block ×8, first 2 shown]
	v_add_co_u32 v12, vcc_lo, v61, s0
	s_wait_alu 0xfffd
	v_add_co_ci_u32_e32 v13, vcc_lo, s1, v62, vcc_lo
	v_cvt_f32_f64_e32 v2, v[2:3]
	v_cvt_f32_f64_e32 v3, v[21:22]
	global_store_b64 v[12:13], v[4:5], off
	v_add_co_u32 v4, vcc_lo, v12, s0
	s_wait_alu 0xfffd
	v_add_co_ci_u32_e32 v5, vcc_lo, s1, v13, vcc_lo
	v_cvt_f32_f64_e32 v12, v[23:24]
	v_cvt_f32_f64_e32 v13, v[25:26]
	;; [unrolled: 1-line block ×3, first 2 shown]
	s_delay_alu instid0(VALU_DEP_4)
	v_mad_co_u64_u32 v[21:22], null, 0xffff9250, s4, v[4:5]
	v_cvt_f32_f64_e32 v17, v[17:18]
	v_cvt_f32_f64_e32 v18, v[19:20]
	;; [unrolled: 1-line block ×6, first 2 shown]
	v_add_nc_u32_e32 v22, s5, v22
	v_add_co_u32 v27, vcc_lo, v21, s0
	v_cvt_f32_f64_e32 v26, v[43:44]
	v_cvt_f32_f64_e32 v8, v[8:9]
	s_wait_alu 0xfffd
	v_add_co_ci_u32_e32 v28, vcc_lo, s1, v22, vcc_lo
	v_cvt_f32_f64_e32 v9, v[29:30]
	v_cvt_f32_f64_e32 v0, v[0:1]
	v_cvt_f32_f64_e32 v1, v[6:7]
	v_add_co_u32 v6, vcc_lo, v27, s0
	s_wait_alu 0xfffd
	v_add_co_ci_u32_e32 v7, vcc_lo, s1, v28, vcc_lo
	v_cvt_f32_f64_e32 v10, v[10:11]
	v_cvt_f32_f64_e32 v11, v[14:15]
	;; [unrolled: 1-line block ×6, first 2 shown]
	v_add_co_u32 v31, vcc_lo, v6, s0
	s_wait_alu 0xfffd
	v_add_co_ci_u32_e32 v32, vcc_lo, s1, v7, vcc_lo
	global_store_b64 v[4:5], v[2:3], off
	v_add_co_u32 v2, vcc_lo, v31, s0
	s_wait_alu 0xfffd
	v_add_co_ci_u32_e32 v3, vcc_lo, s1, v32, vcc_lo
	global_store_b64 v[21:22], v[12:13], off
	;; [unrolled: 4-line block ×7, first 2 shown]
	global_store_b64 v[12:13], v[0:1], off
	global_store_b64 v[6:7], v[10:11], off
	;; [unrolled: 1-line block ×4, first 2 shown]
.LBB0_2:
	s_nop 0
	s_sendmsg sendmsg(MSG_DEALLOC_VGPRS)
	s_endpgm
	.section	.rodata,"a",@progbits
	.p2align	6, 0x0
	.amdhsa_kernel bluestein_single_back_len4050_dim1_sp_op_CI_CI
		.amdhsa_group_segment_fixed_size 32400
		.amdhsa_private_segment_fixed_size 560
		.amdhsa_kernarg_size 104
		.amdhsa_user_sgpr_count 2
		.amdhsa_user_sgpr_dispatch_ptr 0
		.amdhsa_user_sgpr_queue_ptr 0
		.amdhsa_user_sgpr_kernarg_segment_ptr 1
		.amdhsa_user_sgpr_dispatch_id 0
		.amdhsa_user_sgpr_private_segment_size 0
		.amdhsa_wavefront_size32 1
		.amdhsa_uses_dynamic_stack 0
		.amdhsa_enable_private_segment 1
		.amdhsa_system_sgpr_workgroup_id_x 1
		.amdhsa_system_sgpr_workgroup_id_y 0
		.amdhsa_system_sgpr_workgroup_id_z 0
		.amdhsa_system_sgpr_workgroup_info 0
		.amdhsa_system_vgpr_workitem_id 0
		.amdhsa_next_free_vgpr 256
		.amdhsa_next_free_sgpr 20
		.amdhsa_reserve_vcc 1
		.amdhsa_float_round_mode_32 0
		.amdhsa_float_round_mode_16_64 0
		.amdhsa_float_denorm_mode_32 3
		.amdhsa_float_denorm_mode_16_64 3
		.amdhsa_fp16_overflow 0
		.amdhsa_workgroup_processor_mode 1
		.amdhsa_memory_ordered 1
		.amdhsa_forward_progress 0
		.amdhsa_round_robin_scheduling 0
		.amdhsa_exception_fp_ieee_invalid_op 0
		.amdhsa_exception_fp_denorm_src 0
		.amdhsa_exception_fp_ieee_div_zero 0
		.amdhsa_exception_fp_ieee_overflow 0
		.amdhsa_exception_fp_ieee_underflow 0
		.amdhsa_exception_fp_ieee_inexact 0
		.amdhsa_exception_int_div_zero 0
	.end_amdhsa_kernel
	.text
.Lfunc_end0:
	.size	bluestein_single_back_len4050_dim1_sp_op_CI_CI, .Lfunc_end0-bluestein_single_back_len4050_dim1_sp_op_CI_CI
                                        ; -- End function
	.section	.AMDGPU.csdata,"",@progbits
; Kernel info:
; codeLenInByte = 39832
; NumSgprs: 22
; NumVgprs: 256
; ScratchSize: 560
; MemoryBound: 0
; FloatMode: 240
; IeeeMode: 1
; LDSByteSize: 32400 bytes/workgroup (compile time only)
; SGPRBlocks: 2
; VGPRBlocks: 31
; NumSGPRsForWavesPerEU: 22
; NumVGPRsForWavesPerEU: 256
; Occupancy: 5
; WaveLimiterHint : 1
; COMPUTE_PGM_RSRC2:SCRATCH_EN: 1
; COMPUTE_PGM_RSRC2:USER_SGPR: 2
; COMPUTE_PGM_RSRC2:TRAP_HANDLER: 0
; COMPUTE_PGM_RSRC2:TGID_X_EN: 1
; COMPUTE_PGM_RSRC2:TGID_Y_EN: 0
; COMPUTE_PGM_RSRC2:TGID_Z_EN: 0
; COMPUTE_PGM_RSRC2:TIDIG_COMP_CNT: 0
	.text
	.p2alignl 7, 3214868480
	.fill 96, 4, 3214868480
	.type	__hip_cuid_df6abff551ae0271,@object ; @__hip_cuid_df6abff551ae0271
	.section	.bss,"aw",@nobits
	.globl	__hip_cuid_df6abff551ae0271
__hip_cuid_df6abff551ae0271:
	.byte	0                               ; 0x0
	.size	__hip_cuid_df6abff551ae0271, 1

	.ident	"AMD clang version 19.0.0git (https://github.com/RadeonOpenCompute/llvm-project roc-6.4.0 25133 c7fe45cf4b819c5991fe208aaa96edf142730f1d)"
	.section	".note.GNU-stack","",@progbits
	.addrsig
	.addrsig_sym __hip_cuid_df6abff551ae0271
	.amdgpu_metadata
---
amdhsa.kernels:
  - .args:
      - .actual_access:  read_only
        .address_space:  global
        .offset:         0
        .size:           8
        .value_kind:     global_buffer
      - .actual_access:  read_only
        .address_space:  global
        .offset:         8
        .size:           8
        .value_kind:     global_buffer
      - .actual_access:  read_only
        .address_space:  global
        .offset:         16
        .size:           8
        .value_kind:     global_buffer
      - .actual_access:  read_only
        .address_space:  global
        .offset:         24
        .size:           8
        .value_kind:     global_buffer
      - .actual_access:  read_only
        .address_space:  global
        .offset:         32
        .size:           8
        .value_kind:     global_buffer
      - .offset:         40
        .size:           8
        .value_kind:     by_value
      - .address_space:  global
        .offset:         48
        .size:           8
        .value_kind:     global_buffer
      - .address_space:  global
        .offset:         56
        .size:           8
        .value_kind:     global_buffer
      - .address_space:  global
        .offset:         64
        .size:           8
        .value_kind:     global_buffer
      - .address_space:  global
        .offset:         72
        .size:           8
        .value_kind:     global_buffer
      - .offset:         80
        .size:           4
        .value_kind:     by_value
      - .address_space:  global
        .offset:         88
        .size:           8
        .value_kind:     global_buffer
      - .address_space:  global
        .offset:         96
        .size:           8
        .value_kind:     global_buffer
    .group_segment_fixed_size: 32400
    .kernarg_segment_align: 8
    .kernarg_segment_size: 104
    .language:       OpenCL C
    .language_version:
      - 2
      - 0
    .max_flat_workgroup_size: 135
    .name:           bluestein_single_back_len4050_dim1_sp_op_CI_CI
    .private_segment_fixed_size: 560
    .sgpr_count:     22
    .sgpr_spill_count: 0
    .symbol:         bluestein_single_back_len4050_dim1_sp_op_CI_CI.kd
    .uniform_work_group_size: 1
    .uses_dynamic_stack: false
    .vgpr_count:     256
    .vgpr_spill_count: 139
    .wavefront_size: 32
    .workgroup_processor_mode: 1
amdhsa.target:   amdgcn-amd-amdhsa--gfx1201
amdhsa.version:
  - 1
  - 2
...

	.end_amdgpu_metadata
